;; amdgpu-corpus repo=ROCm/rocFFT kind=compiled arch=gfx950 opt=O3
	.text
	.amdgcn_target "amdgcn-amd-amdhsa--gfx950"
	.amdhsa_code_object_version 6
	.protected	bluestein_single_fwd_len676_dim1_sp_op_CI_CI ; -- Begin function bluestein_single_fwd_len676_dim1_sp_op_CI_CI
	.globl	bluestein_single_fwd_len676_dim1_sp_op_CI_CI
	.p2align	8
	.type	bluestein_single_fwd_len676_dim1_sp_op_CI_CI,@function
bluestein_single_fwd_len676_dim1_sp_op_CI_CI: ; @bluestein_single_fwd_len676_dim1_sp_op_CI_CI
; %bb.0:
	s_load_dwordx4 s[12:15], s[0:1], 0x28
	v_mul_u32_u24_e32 v1, 0x4ed, v0
	v_add_u32_sdwa v86, s2, v1 dst_sel:DWORD dst_unused:UNUSED_PAD src0_sel:DWORD src1_sel:WORD_1
	v_mov_b32_e32 v87, 0
	s_waitcnt lgkmcnt(0)
	v_cmp_gt_u64_e32 vcc, s[12:13], v[86:87]
	s_and_saveexec_b64 s[2:3], vcc
	s_cbranch_execz .LBB0_10
; %bb.1:
	s_load_dwordx4 s[4:7], s[0:1], 0x18
	s_load_dwordx4 s[8:11], s[0:1], 0x0
	v_mov_b32_e32 v2, s14
	v_mov_b32_e32 v3, s15
	;; [unrolled: 1-line block ×3, first 2 shown]
	s_waitcnt lgkmcnt(0)
	s_load_dwordx4 s[12:15], s[4:5], 0x0
	v_mul_lo_u16_sdwa v1, v1, v4 dst_sel:DWORD dst_unused:UNUSED_PAD src0_sel:WORD_1 src1_sel:DWORD
	v_sub_u16_e32 v166, v0, v1
	v_mov_b32_e32 v28, 0x1a0
	v_lshlrev_b32_e32 v72, 3, v166
	s_waitcnt lgkmcnt(0)
	v_mad_u64_u32 v[0:1], s[2:3], s14, v86, 0
	v_mov_b32_e32 v4, v1
	v_mad_u64_u32 v[4:5], s[2:3], s15, v86, v[4:5]
	v_mov_b32_e32 v1, v4
	v_mad_u64_u32 v[4:5], s[2:3], s12, v166, 0
	v_mov_b32_e32 v6, v5
	v_mad_u64_u32 v[6:7], s[2:3], s13, v166, v[6:7]
	v_mov_b32_e32 v5, v6
	v_lshl_add_u64 v[0:1], v[0:1], 3, v[2:3]
	v_lshl_add_u64 v[0:1], v[4:5], 3, v[0:1]
	global_load_dwordx2 v[2:3], v[0:1], off
	v_mad_u64_u32 v[0:1], s[2:3], s12, v28, v[0:1]
	s_mul_i32 s4, s13, 0x1a0
	v_add_u32_e32 v1, s4, v1
	v_mad_u64_u32 v[6:7], s[2:3], s12, v28, v[0:1]
	v_add_u32_e32 v7, s4, v7
	v_mad_u64_u32 v[8:9], s[2:3], s12, v28, v[6:7]
	v_add_u32_e32 v9, s4, v9
	global_load_dwordx2 v[100:101], v72, s[8:9]
	global_load_dwordx2 v[98:99], v72, s[8:9] offset:416
	global_load_dwordx2 v[92:93], v72, s[8:9] offset:832
	;; [unrolled: 1-line block ×3, first 2 shown]
	global_load_dwordx2 v[10:11], v[0:1], off
	v_mad_u64_u32 v[0:1], s[2:3], s12, v28, v[8:9]
	v_add_u32_e32 v1, s4, v1
	global_load_dwordx2 v[12:13], v[6:7], off
	global_load_dwordx2 v[14:15], v[8:9], off
	;; [unrolled: 1-line block ×3, first 2 shown]
	v_mad_u64_u32 v[0:1], s[2:3], s12, v28, v[0:1]
	v_add_u32_e32 v1, s4, v1
	global_load_dwordx2 v[6:7], v[0:1], off
	v_mad_u64_u32 v[0:1], s[2:3], s12, v28, v[0:1]
	v_add_u32_e32 v1, s4, v1
	global_load_dwordx2 v[96:97], v72, s[8:9] offset:1664
	global_load_dwordx2 v[8:9], v[0:1], off
	v_mad_u64_u32 v[0:1], s[2:3], s12, v28, v[0:1]
	v_add_u32_e32 v1, s4, v1
	global_load_dwordx2 v[94:95], v72, s[8:9] offset:2080
	global_load_dwordx2 v[18:19], v[0:1], off
	global_load_dwordx2 v[42:43], v72, s[8:9] offset:2496
	global_load_dwordx2 v[38:39], v72, s[8:9] offset:2912
	v_mad_u64_u32 v[0:1], s[2:3], s12, v28, v[0:1]
	v_add_u32_e32 v1, s4, v1
	global_load_dwordx2 v[20:21], v[0:1], off
	v_mad_u64_u32 v[0:1], s[2:3], s12, v28, v[0:1]
	v_add_u32_e32 v1, s4, v1
	v_mov_b32_e32 v73, v87
	global_load_dwordx2 v[22:23], v[0:1], off
	global_load_dwordx2 v[40:41], v72, s[8:9] offset:3328
	global_load_dwordx2 v[36:37], v72, s[8:9] offset:3744
	v_mad_u64_u32 v[0:1], s[2:3], s12, v28, v[0:1]
	v_lshl_add_u64 v[4:5], s[8:9], 0, v[72:73]
	v_add_u32_e32 v1, s4, v1
	s_movk_i32 s2, 0x1000
	global_load_dwordx2 v[24:25], v[0:1], off
	v_add_co_u32_e32 v4, vcc, s2, v4
	v_mad_u64_u32 v[0:1], s[2:3], s12, v28, v[0:1]
	s_nop 0
	v_addc_co_u32_e32 v5, vcc, 0, v5, vcc
	v_add_u32_e32 v1, s4, v1
	global_load_dwordx2 v[34:35], v[4:5], off offset:64
	global_load_dwordx2 v[26:27], v[0:1], off
	global_load_dwordx2 v[32:33], v[4:5], off offset:480
	v_mad_u64_u32 v[0:1], s[2:3], s12, v28, v[0:1]
	v_add_u32_e32 v1, s4, v1
	global_load_dwordx2 v[30:31], v[4:5], off offset:896
	global_load_dwordx2 v[28:29], v[0:1], off
	v_add_u32_e32 v73, 0x400, v72
	v_add_u32_e32 v154, 0x800, v72
	;; [unrolled: 1-line block ×3, first 2 shown]
	s_load_dwordx4 s[4:7], s[6:7], 0x0
	s_mov_b32 s38, 0xbeedf032
	s_mov_b32 s39, 0x3f62ad3f
	s_mov_b32 s2, s39
	s_mov_b32 s3, s38
	s_mov_b32 s12, 0xbf7e222b
	s_mov_b32 s13, 0x3df6dbef
	s_mov_b32 s30, s13
	s_mov_b32 s31, s12
	s_mov_b32 s14, 0xbf6f5d39
	s_mov_b32 s15, 0xbeb58ec6
	s_mov_b32 s24, s15
	s_mov_b32 s25, s14
	s_mov_b32 s16, 0xbf29c268
	s_mov_b32 s17, 0xbf3f9e67
	s_mov_b32 s22, s17
	s_mov_b32 s23, s16
	s_mov_b32 s18, 0xbe750f2a
	s_mov_b32 s19, 0xbf788fa5
	s_mov_b32 s20, s19
	s_mov_b32 s21, s18
	s_mov_b32 s36, 0x3f29c268
	s_mov_b32 s40, s17
	s_mov_b32 s41, s36
	s_mov_b32 s37, s17
	s_mov_b32 s28, 0x3f7e222b
	s_mov_b32 s46, s13
	s_waitcnt vmcnt(24)
	v_mul_f32_e32 v0, v3, v101
	v_mul_f32_e32 v1, v2, v101
	v_fmac_f32_e32 v0, v2, v100
	v_fma_f32 v1, v3, v100, -v1
	s_waitcnt vmcnt(20)
	v_mul_f32_e32 v2, v11, v99
	v_mul_f32_e32 v3, v10, v99
	v_fmac_f32_e32 v2, v10, v98
	v_fma_f32 v3, v11, v98, -v3
	ds_write2_b64 v72, v[0:1], v[2:3] offset1:52
	s_waitcnt vmcnt(19)
	v_mul_f32_e32 v0, v13, v93
	v_mul_f32_e32 v1, v12, v93
	s_waitcnt vmcnt(18)
	v_mul_f32_e32 v2, v15, v91
	v_mul_f32_e32 v3, v14, v91
	v_fmac_f32_e32 v0, v12, v92
	v_fma_f32 v1, v13, v92, -v1
	v_fmac_f32_e32 v2, v14, v90
	v_fma_f32 v3, v15, v90, -v3
	ds_write2_b64 v72, v[0:1], v[2:3] offset0:104 offset1:156
	s_waitcnt vmcnt(15)
	v_mul_f32_e32 v0, v17, v97
	v_mul_f32_e32 v1, v16, v97
	s_waitcnt vmcnt(13)
	v_mul_f32_e32 v2, v7, v95
	v_mul_f32_e32 v3, v6, v95
	v_fmac_f32_e32 v0, v16, v96
	v_fma_f32 v1, v17, v96, -v1
	v_fmac_f32_e32 v2, v6, v94
	v_fma_f32 v3, v7, v94, -v3
	ds_write2_b64 v73, v[0:1], v[2:3] offset0:80 offset1:132
	;; [unrolled: 11-line block ×5, first 2 shown]
	s_waitcnt vmcnt(0)
	v_mul_f32_e32 v0, v29, v31
	v_mul_f32_e32 v1, v28, v31
	v_fmac_f32_e32 v0, v28, v30
	v_fma_f32 v1, v29, v30, -v1
	ds_write_b64 v72, v[0:1] offset:4992
	s_waitcnt lgkmcnt(0)
	; wave barrier
	s_waitcnt lgkmcnt(0)
	ds_read2_b64 v[4:7], v73 offset0:80 offset1:132
	ds_read2_b64 v[8:11], v154 offset0:160 offset1:212
	;; [unrolled: 1-line block ×3, first 2 shown]
	ds_read2_b64 v[0:3], v72 offset1:52
	v_accvgpr_write_b32 a10, v40
	v_accvgpr_write_b32 a8, v38
	;; [unrolled: 1-line block ×3, first 2 shown]
	s_waitcnt lgkmcnt(2)
	v_pk_add_f32 v[40:41], v[10:11], v[4:5]
	s_waitcnt lgkmcnt(0)
	v_pk_add_f32 v[16:17], v[0:1], v[2:3]
	v_pk_add_f32 v[22:23], v[4:5], v[10:11] neg_lo:[0,1] neg_hi:[0,1]
	v_pk_add_f32 v[20:21], v[16:17], v[12:13]
	ds_read2_b64 v[16:19], v154 offset0:56 offset1:108
	v_pk_add_f32 v[20:21], v[20:21], v[14:15]
	v_accvgpr_write_b32 a9, v39
	v_pk_add_f32 v[4:5], v[20:21], v[4:5]
	v_pk_add_f32 v[38:39], v[8:9], v[6:7]
	v_pk_add_f32 v[28:29], v[6:7], v[8:9] neg_lo:[0,1] neg_hi:[0,1]
	v_pk_add_f32 v[20:21], v[4:5], v[6:7]
	ds_read2_b64 v[4:7], v155 offset0:8 offset1:60
	s_waitcnt lgkmcnt(1)
	v_pk_add_f32 v[20:21], v[20:21], v[16:17]
	v_accvgpr_write_b32 a12, v42
	v_pk_add_f32 v[20:21], v[20:21], v[18:19]
	v_accvgpr_write_b32 a13, v43
	v_pk_add_f32 v[8:9], v[20:21], v[8:9]
	s_waitcnt lgkmcnt(0)
	v_pk_add_f32 v[54:55], v[6:7], v[12:13]
	v_pk_add_f32 v[8:9], v[8:9], v[10:11]
	v_pk_add_f32 v[10:11], v[12:13], v[6:7] neg_lo:[0,1] neg_hi:[0,1]
	ds_read_b64 v[12:13], v72 offset:4992
	v_pk_add_f32 v[48:49], v[4:5], v[14:15]
	v_pk_add_f32 v[20:21], v[14:15], v[4:5] neg_lo:[0,1] neg_hi:[0,1]
	v_pk_add_f32 v[4:5], v[8:9], v[4:5]
	v_accvgpr_write_b32 a4, v34
	v_pk_add_f32 v[4:5], v[4:5], v[6:7]
	s_waitcnt lgkmcnt(0)
	v_pk_add_f32 v[60:61], v[12:13], v[2:3]
	v_pk_add_f32 v[42:43], v[4:5], v[12:13]
	v_pk_add_f32 v[4:5], v[2:3], v[12:13] neg_lo:[0,1] neg_hi:[0,1]
	v_mov_b32_e32 v3, v61
	v_mov_b32_e32 v61, v4
	v_pk_mul_f32 v[8:9], v[60:61], s[2:3]
	s_mov_b32 s2, 0xbf52af12
	v_mov_b32_e32 v2, v5
	s_mov_b32 s3, 0x3f116cb1
	v_mov_b32_e32 v4, v11
	v_mov_b32_e32 v5, v55
	;; [unrolled: 1-line block ×3, first 2 shown]
	v_pk_fma_f32 v[10:11], v[2:3], s[38:39], v[8:9] neg_lo:[1,0,0] neg_hi:[1,0,0]
	v_pk_fma_f32 v[6:7], v[2:3], s[38:39], v[8:9]
	s_mov_b32 s34, s3
	s_mov_b32 s35, s2
	v_mov_b32_e32 v11, v7
	v_pk_mul_f32 v[12:13], v[54:55], s[34:35]
	v_accvgpr_write_b32 a5, v35
	v_pk_add_f32 v[44:45], v[18:19], v[16:17]
	v_pk_add_f32 v[34:35], v[16:17], v[18:19] neg_lo:[0,1] neg_hi:[0,1]
	v_pk_add_f32 v[14:15], v[0:1], v[10:11]
	v_pk_fma_f32 v[16:17], v[4:5], s[2:3], v[12:13] neg_lo:[1,0,0] neg_hi:[1,0,0]
	v_pk_fma_f32 v[10:11], v[4:5], s[2:3], v[12:13]
	v_accvgpr_write_b32 a0, v30
	v_mov_b32_e32 v17, v11
	v_pk_add_f32 v[24:25], v[16:17], v[14:15]
	v_mov_b32_e32 v15, v49
	v_mov_b32_e32 v49, v20
	v_mov_b32_e32 v14, v21
	v_pk_mul_f32 v[18:19], v[48:49], s[30:31]
	v_accvgpr_write_b32 a1, v31
	v_pk_fma_f32 v[20:21], v[14:15], s[12:13], v[18:19] neg_lo:[1,0,0] neg_hi:[1,0,0]
	v_pk_fma_f32 v[16:17], v[14:15], s[12:13], v[18:19]
	v_accvgpr_write_b32 a2, v32
	v_mov_b32_e32 v21, v17
	v_pk_add_f32 v[26:27], v[20:21], v[24:25]
	v_mov_b32_e32 v21, v41
	v_mov_b32_e32 v41, v22
	v_mov_b32_e32 v20, v23
	v_pk_mul_f32 v[24:25], v[40:41], s[24:25]
	v_accvgpr_write_b32 a3, v33
	;; [unrolled: 10-line block ×3, first 2 shown]
	v_pk_fma_f32 v[36:37], v[26:27], s[16:17], v[30:31] neg_lo:[1,0,0] neg_hi:[1,0,0]
	v_pk_fma_f32 v[28:29], v[26:27], s[16:17], v[30:31]
	v_mul_lo_u16_e32 v7, 13, v166
	v_mov_b32_e32 v37, v29
	v_pk_add_f32 v[46:47], v[36:37], v[32:33]
	v_mov_b32_e32 v33, v45
	v_mov_b32_e32 v45, v34
	;; [unrolled: 1-line block ×3, first 2 shown]
	v_pk_mul_f32 v[36:37], v[44:45], s[20:21]
	v_lshlrev_b32_e32 v87, 3, v7
	v_pk_fma_f32 v[50:51], v[32:33], s[18:19], v[36:37] neg_lo:[1,0,0] neg_hi:[1,0,0]
	v_pk_fma_f32 v[34:35], v[32:33], s[18:19], v[36:37]
	s_nop 0
	v_mov_b32_e32 v51, v35
	v_pk_add_f32 v[46:47], v[50:51], v[46:47]
	v_pk_mul_f32 v[50:51], v[60:61], s[34:35]
	; wave barrier
	ds_write2_b64 v87, v[42:43], v[46:47] offset1:1
	v_pk_fma_f32 v[56:57], v[2:3], s[2:3], v[50:51] neg_lo:[1,0,0] neg_hi:[1,0,0]
	v_pk_fma_f32 v[42:43], v[2:3], s[2:3], v[50:51]
	v_pk_mul_f32 v[52:53], v[54:55], s[24:25]
	v_mov_b32_e32 v57, v43
	v_pk_fma_f32 v[58:59], v[4:5], s[14:15], v[52:53] neg_lo:[1,0,0] neg_hi:[1,0,0]
	v_pk_fma_f32 v[46:47], v[4:5], s[14:15], v[52:53]
	v_pk_add_f32 v[56:57], v[0:1], v[56:57]
	v_mov_b32_e32 v59, v47
	v_pk_mul_f32 v[62:63], v[48:49], s[20:21]
	v_pk_add_f32 v[58:59], v[58:59], v[56:57]
	v_pk_fma_f32 v[64:65], v[14:15], s[18:19], v[62:63] neg_lo:[1,0,0] neg_hi:[1,0,0]
	v_pk_fma_f32 v[56:57], v[14:15], s[18:19], v[62:63]
	v_pk_mul_f32 v[66:67], v[40:41], s[40:41]
	v_mov_b32_e32 v65, v57
	v_pk_add_f32 v[64:65], v[64:65], v[58:59]
	v_pk_fma_f32 v[68:69], v[20:21], s[36:37], v[66:67] neg_lo:[1,0,0] neg_hi:[1,0,0]
	v_pk_fma_f32 v[58:59], v[20:21], s[36:37], v[66:67]
	s_mov_b32 s47, s28
	v_mov_b32_e32 v69, v59
	v_pk_add_f32 v[70:71], v[68:69], v[64:65]
	s_mov_b32 s29, s13
	v_pk_mul_f32 v[68:69], v[38:39], s[46:47]
	s_mov_b32 s26, 0x3eedf032
	v_pk_fma_f32 v[102:103], v[26:27], s[28:29], v[68:69] neg_lo:[1,0,0] neg_hi:[1,0,0]
	v_pk_fma_f32 v[64:65], v[26:27], s[28:29], v[68:69]
	s_mov_b32 s48, s39
	v_mov_b32_e32 v103, v65
	s_mov_b32 s49, s26
	v_pk_add_f32 v[104:105], v[102:103], v[70:71]
	s_mov_b32 s27, s39
	v_pk_mul_f32 v[102:103], v[44:45], s[48:49]
	v_pk_mul_f32 v[108:109], v[60:61], s[30:31]
	v_pk_fma_f32 v[106:107], v[32:33], s[26:27], v[102:103] neg_lo:[1,0,0] neg_hi:[1,0,0]
	v_pk_fma_f32 v[70:71], v[32:33], s[26:27], v[102:103]
	v_pk_fma_f32 v[112:113], v[2:3], s[12:13], v[108:109] neg_lo:[1,0,0] neg_hi:[1,0,0]
	v_mov_b32_e32 v107, v71
	v_pk_add_f32 v[128:129], v[106:107], v[104:105]
	v_pk_fma_f32 v[104:105], v[2:3], s[12:13], v[108:109]
	v_pk_mul_f32 v[110:111], v[54:55], s[20:21]
	s_mov_b32 s44, 0x3f6f5d39
	v_mov_b32_e32 v113, v105
	v_pk_fma_f32 v[114:115], v[4:5], s[18:19], v[110:111] neg_lo:[1,0,0] neg_hi:[1,0,0]
	v_pk_fma_f32 v[106:107], v[4:5], s[18:19], v[110:111]
	s_mov_b32 s42, s15
	s_mov_b32 s43, s44
	v_mov_b32_e32 v115, v107
	v_pk_add_f32 v[112:113], v[0:1], v[112:113]
	s_mov_b32 s45, s15
	v_pk_mul_f32 v[118:119], v[48:49], s[42:43]
	v_pk_add_f32 v[114:115], v[114:115], v[112:113]
	v_pk_fma_f32 v[116:117], v[14:15], s[44:45], v[118:119] neg_lo:[1,0,0] neg_hi:[1,0,0]
	v_pk_fma_f32 v[112:113], v[14:15], s[44:45], v[118:119]
	v_pk_mul_f32 v[122:123], v[40:41], s[48:49]
	v_mov_b32_e32 v117, v113
	v_pk_add_f32 v[116:117], v[116:117], v[114:115]
	v_pk_fma_f32 v[120:121], v[20:21], s[26:27], v[122:123] neg_lo:[1,0,0] neg_hi:[1,0,0]
	v_pk_fma_f32 v[114:115], v[20:21], s[26:27], v[122:123]
	v_pk_mul_f32 v[124:125], v[38:39], s[34:35]
	v_mov_b32_e32 v121, v115
	v_pk_add_f32 v[120:121], v[120:121], v[116:117]
	v_pk_fma_f32 v[126:127], v[26:27], s[2:3], v[124:125] neg_lo:[1,0,0] neg_hi:[1,0,0]
	v_pk_fma_f32 v[116:117], v[26:27], s[2:3], v[124:125]
	v_pk_mul_f32 v[134:135], v[54:55], s[40:41]
	v_mov_b32_e32 v127, v117
	v_pk_add_f32 v[130:131], v[126:127], v[120:121]
	v_pk_mul_f32 v[126:127], v[44:45], s[22:23]
	v_pk_fma_f32 v[136:137], v[4:5], s[36:37], v[134:135] neg_lo:[1,0,0] neg_hi:[1,0,0]
	v_pk_fma_f32 v[132:133], v[32:33], s[16:17], v[126:127] neg_lo:[1,0,0] neg_hi:[1,0,0]
	v_pk_fma_f32 v[120:121], v[32:33], s[16:17], v[126:127]
	v_pk_fma_f32 v[138:139], v[4:5], s[36:37], v[134:135]
	v_mov_b32_e32 v133, v121
	v_pk_add_f32 v[130:131], v[132:133], v[130:131]
	ds_write2_b64 v87, v[128:129], v[130:131] offset0:2 offset1:3
	v_pk_mul_f32 v[130:131], v[60:61], s[24:25]
	v_mov_b32_e32 v137, v139
	v_pk_fma_f32 v[132:133], v[2:3], s[14:15], v[130:131] neg_lo:[1,0,0] neg_hi:[1,0,0]
	v_pk_fma_f32 v[128:129], v[2:3], s[14:15], v[130:131]
	s_mov_b32 s42, 0x3e750f2a
	v_mov_b32_e32 v133, v129
	v_pk_add_f32 v[132:133], v[0:1], v[132:133]
	s_mov_b32 s52, s19
	v_pk_add_f32 v[132:133], v[136:137], v[132:133]
	v_pk_mul_f32 v[136:137], v[48:49], s[48:49]
	s_mov_b32 s53, s42
	v_pk_fma_f32 v[140:141], v[14:15], s[26:27], v[136:137] neg_lo:[1,0,0] neg_hi:[1,0,0]
	v_pk_fma_f32 v[142:143], v[14:15], s[26:27], v[136:137]
	s_mov_b32 s43, s19
	v_mov_b32_e32 v141, v143
	v_pk_add_f32 v[132:133], v[140:141], v[132:133]
	v_pk_mul_f32 v[140:141], v[40:41], s[30:31]
	s_mov_b32 s40, 0x3f52af12
	v_pk_fma_f32 v[144:145], v[20:21], s[12:13], v[140:141] neg_lo:[1,0,0] neg_hi:[1,0,0]
	v_pk_fma_f32 v[146:147], v[20:21], s[12:13], v[140:141]
	s_mov_b32 s50, s3
	v_mov_b32_e32 v145, v147
	;; [unrolled: 7-line block ×3, first 2 shown]
	v_pk_add_f32 v[132:133], v[148:149], v[132:133]
	v_pk_mul_f32 v[148:149], v[44:45], s[50:51]
	v_pk_mul_f32 v[162:163], v[54:55], s[46:47]
	v_pk_fma_f32 v[152:153], v[32:33], s[40:41], v[148:149] neg_lo:[1,0,0] neg_hi:[1,0,0]
	v_pk_fma_f32 v[156:157], v[32:33], s[40:41], v[148:149]
	v_pk_fma_f32 v[164:165], v[4:5], s[28:29], v[162:163] neg_lo:[1,0,0] neg_hi:[1,0,0]
	v_mov_b32_e32 v153, v157
	v_pk_add_f32 v[132:133], v[152:153], v[132:133]
	v_pk_mul_f32 v[152:153], v[60:61], s[22:23]
	v_pk_fma_f32 v[168:169], v[4:5], s[28:29], v[162:163]
	v_pk_fma_f32 v[158:159], v[2:3], s[16:17], v[152:153] neg_lo:[1,0,0] neg_hi:[1,0,0]
	v_pk_fma_f32 v[160:161], v[2:3], s[16:17], v[152:153]
	v_mov_b32_e32 v165, v169
	v_mov_b32_e32 v159, v161
	v_pk_add_f32 v[158:159], v[0:1], v[158:159]
	v_pk_mul_f32 v[60:61], v[60:61], s[20:21]
	v_pk_add_f32 v[158:159], v[164:165], v[158:159]
	v_pk_mul_f32 v[164:165], v[48:49], s[34:35]
	v_pk_mul_f32 v[54:55], v[54:55], s[48:49]
	v_pk_fma_f32 v[170:171], v[14:15], s[2:3], v[164:165] neg_lo:[1,0,0] neg_hi:[1,0,0]
	v_pk_fma_f32 v[172:173], v[14:15], s[2:3], v[164:165]
	v_pk_fma_f32 v[186:187], v[4:5], s[26:27], v[54:55]
	v_mov_b32_e32 v171, v173
	v_pk_add_f32 v[158:159], v[170:171], v[158:159]
	v_pk_mul_f32 v[170:171], v[40:41], s[52:53]
	v_pk_mul_f32 v[48:49], v[48:49], s[22:23]
	v_pk_fma_f32 v[174:175], v[20:21], s[42:43], v[170:171] neg_lo:[1,0,0] neg_hi:[1,0,0]
	v_pk_fma_f32 v[176:177], v[20:21], s[42:43], v[170:171]
	v_pk_fma_f32 v[188:189], v[14:15], s[16:17], v[48:49]
	v_mov_b32_e32 v175, v177
	;; [unrolled: 7-line block ×4, first 2 shown]
	v_pk_add_f32 v[158:159], v[182:183], v[158:159]
	ds_write2_b64 v87, v[132:133], v[158:159] offset0:4 offset1:5
	v_pk_fma_f32 v[132:133], v[2:3], s[18:19], v[60:61] neg_lo:[1,0,0] neg_hi:[1,0,0]
	v_pk_fma_f32 v[158:159], v[2:3], s[18:19], v[60:61]
	v_pk_fma_f32 v[182:183], v[4:5], s[26:27], v[54:55] neg_lo:[1,0,0] neg_hi:[1,0,0]
	v_mov_b32_e32 v133, v159
	v_mov_b32_e32 v183, v187
	v_pk_add_f32 v[132:133], v[0:1], v[132:133]
	v_pk_mul_f32 v[44:45], v[44:45], s[46:47]
	v_pk_add_f32 v[132:133], v[182:183], v[132:133]
	v_pk_fma_f32 v[182:183], v[14:15], s[16:17], v[48:49] neg_lo:[1,0,0] neg_hi:[1,0,0]
	v_pk_fma_f32 v[60:61], v[2:3], s[18:19], v[60:61] neg_lo:[0,0,1] neg_hi:[0,0,1]
	v_mov_b32_e32 v183, v189
	v_pk_add_f32 v[132:133], v[182:183], v[132:133]
	v_pk_fma_f32 v[182:183], v[20:21], s[40:41], v[40:41] neg_lo:[1,0,0] neg_hi:[1,0,0]
	v_pk_fma_f32 v[194:195], v[32:33], s[28:29], v[44:45]
	v_mov_b32_e32 v183, v191
	v_pk_add_f32 v[132:133], v[182:183], v[132:133]
	v_pk_fma_f32 v[182:183], v[26:27], s[14:15], v[38:39] neg_lo:[1,0,0] neg_hi:[1,0,0]
	v_pk_fma_f32 v[38:39], v[26:27], s[14:15], v[38:39] neg_lo:[0,0,1] neg_hi:[0,0,1]
	v_mov_b32_e32 v183, v193
	v_pk_add_f32 v[132:133], v[182:183], v[132:133]
	v_pk_fma_f32 v[182:183], v[32:33], s[28:29], v[44:45] neg_lo:[1,0,0] neg_hi:[1,0,0]
	v_mov_b32_e32 v159, v61
	v_pk_fma_f32 v[54:55], v[4:5], s[26:27], v[54:55] neg_lo:[0,0,1] neg_hi:[0,0,1]
	v_mov_b32_e32 v193, v39
	;; [unrolled: 2-line block ×3, first 2 shown]
	v_mov_b32_e32 v187, v55
	v_pk_fma_f32 v[48:49], v[14:15], s[16:17], v[48:49] neg_lo:[0,0,1] neg_hi:[0,0,1]
	v_mov_b32_e32 v195, v39
	v_pk_add_f32 v[38:39], v[0:1], v[158:159]
	v_mov_b32_e32 v189, v49
	v_pk_fma_f32 v[40:41], v[20:21], s[40:41], v[40:41] neg_lo:[0,0,1] neg_hi:[0,0,1]
	v_pk_add_f32 v[38:39], v[186:187], v[38:39]
	v_mov_b32_e32 v191, v41
	v_pk_add_f32 v[38:39], v[188:189], v[38:39]
	v_pk_add_f32 v[132:133], v[182:183], v[132:133]
	;; [unrolled: 1-line block ×3, first 2 shown]
	v_pk_fma_f32 v[40:41], v[2:3], s[14:15], v[130:131] neg_lo:[0,0,1] neg_hi:[0,0,1]
	v_pk_add_f32 v[38:39], v[192:193], v[38:39]
	v_mov_b32_e32 v129, v41
	v_pk_add_f32 v[38:39], v[194:195], v[38:39]
	ds_write2_b64 v87, v[132:133], v[38:39] offset0:6 offset1:7
	v_pk_fma_f32 v[38:39], v[2:3], s[16:17], v[152:153] neg_lo:[0,0,1] neg_hi:[0,0,1]
	v_pk_fma_f32 v[40:41], v[4:5], s[36:37], v[134:135] neg_lo:[0,0,1] neg_hi:[0,0,1]
	v_mov_b32_e32 v161, v39
	v_pk_fma_f32 v[38:39], v[4:5], s[28:29], v[162:163] neg_lo:[0,0,1] neg_hi:[0,0,1]
	v_mov_b32_e32 v139, v41
	v_mov_b32_e32 v169, v39
	v_pk_fma_f32 v[38:39], v[14:15], s[2:3], v[164:165] neg_lo:[0,0,1] neg_hi:[0,0,1]
	v_pk_fma_f32 v[40:41], v[14:15], s[26:27], v[136:137] neg_lo:[0,0,1] neg_hi:[0,0,1]
	v_mov_b32_e32 v173, v39
	v_pk_fma_f32 v[38:39], v[20:21], s[42:43], v[170:171] neg_lo:[0,0,1] neg_hi:[0,0,1]
	v_mov_b32_e32 v143, v41
	v_pk_fma_f32 v[40:41], v[20:21], s[12:13], v[140:141] neg_lo:[0,0,1] neg_hi:[0,0,1]
	v_mov_b32_e32 v177, v39
	v_pk_fma_f32 v[38:39], v[26:27], s[26:27], v[174:175] neg_lo:[0,0,1] neg_hi:[0,0,1]
	v_mov_b32_e32 v147, v41
	v_pk_fma_f32 v[40:41], v[26:27], s[42:43], v[144:145] neg_lo:[0,0,1] neg_hi:[0,0,1]
	v_mov_b32_e32 v181, v39
	v_pk_fma_f32 v[38:39], v[32:33], s[14:15], v[178:179] neg_lo:[0,0,1] neg_hi:[0,0,1]
	v_mov_b32_e32 v151, v41
	v_pk_fma_f32 v[40:41], v[32:33], s[40:41], v[148:149] neg_lo:[0,0,1] neg_hi:[0,0,1]
	v_mov_b32_e32 v185, v39
	v_pk_add_f32 v[38:39], v[0:1], v[160:161]
	v_mov_b32_e32 v157, v41
	v_pk_add_f32 v[40:41], v[0:1], v[128:129]
	v_pk_add_f32 v[38:39], v[168:169], v[38:39]
	;; [unrolled: 1-line block ×11, first 2 shown]
	ds_write2_b64 v87, v[38:39], v[40:41] offset0:8 offset1:9
	v_pk_fma_f32 v[38:39], v[2:3], s[12:13], v[108:109] neg_lo:[0,0,1] neg_hi:[0,0,1]
	v_pk_fma_f32 v[40:41], v[2:3], s[2:3], v[50:51] neg_lo:[0,0,1] neg_hi:[0,0,1]
	v_mov_b32_e32 v105, v39
	v_pk_fma_f32 v[38:39], v[4:5], s[18:19], v[110:111] neg_lo:[0,0,1] neg_hi:[0,0,1]
	v_mov_b32_e32 v43, v41
	;; [unrolled: 2-line block ×8, first 2 shown]
	v_pk_fma_f32 v[40:41], v[26:27], s[28:29], v[68:69] neg_lo:[0,0,1] neg_hi:[0,0,1]
	v_pk_fma_f32 v[2:3], v[2:3], s[38:39], v[8:9] neg_lo:[0,0,1] neg_hi:[0,0,1]
	v_mov_b32_e32 v117, v39
	v_pk_fma_f32 v[38:39], v[32:33], s[16:17], v[126:127] neg_lo:[0,0,1] neg_hi:[0,0,1]
	v_mov_b32_e32 v65, v41
	;; [unrolled: 2-line block ×4, first 2 shown]
	v_pk_add_f32 v[38:39], v[0:1], v[104:105]
	v_mov_b32_e32 v71, v41
	v_pk_add_f32 v[40:41], v[0:1], v[42:43]
	v_pk_add_f32 v[0:1], v[0:1], v[6:7]
	v_mov_b32_e32 v11, v3
	v_pk_fma_f32 v[2:3], v[14:15], s[12:13], v[18:19] neg_lo:[0,0,1] neg_hi:[0,0,1]
	v_pk_add_f32 v[0:1], v[10:11], v[0:1]
	v_mov_b32_e32 v17, v3
	v_pk_fma_f32 v[2:3], v[20:21], s[14:15], v[24:25] neg_lo:[0,0,1] neg_hi:[0,0,1]
	;; [unrolled: 3-line block ×3, first 2 shown]
	v_pk_add_f32 v[40:41], v[46:47], v[40:41]
	v_pk_add_f32 v[0:1], v[22:23], v[0:1]
	v_mov_b32_e32 v29, v3
	v_pk_fma_f32 v[2:3], v[32:33], s[18:19], v[36:37] neg_lo:[0,0,1] neg_hi:[0,0,1]
	v_pk_add_f32 v[40:41], v[56:57], v[40:41]
	v_pk_add_f32 v[0:1], v[28:29], v[0:1]
	v_mov_b32_e32 v35, v3
	v_pk_add_f32 v[40:41], v[58:59], v[40:41]
	v_pk_add_f32 v[0:1], v[34:35], v[0:1]
	s_movk_i32 s27, 0x4f
	v_pk_add_f32 v[40:41], v[64:65], v[40:41]
	ds_write_b64 v87, v[0:1] offset:96
	v_mul_lo_u16_sdwa v0, v166, s27 dst_sel:DWORD dst_unused:UNUSED_PAD src0_sel:BYTE_0 src1_sel:DWORD
	v_pk_add_f32 v[40:41], v[70:71], v[40:41]
	v_lshrrev_b16_e32 v70, 10, v0
	v_pk_add_f32 v[38:39], v[106:107], v[38:39]
	v_mul_lo_u16_e32 v0, 13, v70
	v_pk_add_f32 v[38:39], v[112:113], v[38:39]
	v_sub_u16_e32 v0, v166, v0
	v_pk_add_f32 v[38:39], v[114:115], v[38:39]
	v_and_b32_e32 v71, 0xff, v0
	v_pk_add_f32 v[38:39], v[116:117], v[38:39]
	v_mul_u32_u24_e32 v0, 12, v71
	v_pk_add_f32 v[38:39], v[120:121], v[38:39]
	v_lshlrev_b32_e32 v24, 3, v0
	ds_write2_b64 v87, v[38:39], v[40:41] offset0:10 offset1:11
	s_waitcnt lgkmcnt(0)
	; wave barrier
	s_waitcnt lgkmcnt(0)
	global_load_dwordx4 v[4:7], v24, s[10:11]
	global_load_dwordx4 v[0:3], v24, s[10:11] offset:16
	global_load_dwordx4 v[8:11], v24, s[10:11] offset:32
	global_load_dwordx4 v[12:15], v24, s[10:11] offset:48
	global_load_dwordx4 v[16:19], v24, s[10:11] offset:64
	global_load_dwordx4 v[20:23], v24, s[10:11] offset:80
	ds_read2_b64 v[24:27], v72 offset0:104 offset1:156
	s_mov_b32 s46, s39
	s_mov_b32 s50, s13
	;; [unrolled: 1-line block ×5, first 2 shown]
	v_cmp_gt_u16_e32 vcc, 13, v166
	s_waitcnt vmcnt(5)
	v_mov_b32_e32 v28, v7
	s_waitcnt lgkmcnt(0)
	v_pk_mul_f32 v[28:29], v[24:25], v[28:29] op_sel:[1,0] op_sel_hi:[0,1]
	v_pk_fma_f32 v[32:33], v[24:25], v[6:7], v[28:29] neg_lo:[0,0,1] neg_hi:[0,0,1]
	v_pk_mul_f32 v[28:29], v[24:25], v[6:7] op_sel:[1,0] op_sel_hi:[0,1]
	v_mov_b32_e32 v29, v28
	v_pk_fma_f32 v[34:35], v[24:25], v[6:7], v[28:29] op_sel:[1,0,0] op_sel_hi:[0,1,1]
	ds_read2_b64 v[28:31], v73 offset0:80 offset1:132
	s_waitcnt vmcnt(4)
	v_mov_b32_e32 v24, v1
	v_pk_mul_f32 v[24:25], v[26:27], v[24:25] op_sel:[1,0] op_sel_hi:[0,1]
	v_pk_fma_f32 v[36:37], v[26:27], v[0:1], v[24:25] neg_lo:[0,0,1] neg_hi:[0,0,1]
	v_pk_mul_f32 v[24:25], v[26:27], v[0:1] op_sel:[1,0] op_sel_hi:[0,1]
	v_mov_b32_e32 v25, v24
	v_mov_b32_e32 v108, v3
	v_pk_fma_f32 v[38:39], v[26:27], v[0:1], v[24:25] op_sel:[1,0,0] op_sel_hi:[0,1,1]
	s_waitcnt lgkmcnt(0)
	v_pk_mul_f32 v[24:25], v[28:29], v[108:109] op_sel_hi:[1,0]
	s_waitcnt vmcnt(3)
	v_mov_b32_e32 v106, v11
	v_pk_fma_f32 v[40:41], v[28:29], v[2:3], v[24:25] op_sel:[0,0,1] op_sel_hi:[1,0,0]
	v_pk_fma_f32 v[44:45], v[28:29], v[2:3], v[24:25] op_sel:[0,0,1] op_sel_hi:[1,0,0] neg_lo:[0,0,1] neg_hi:[0,0,1]
	ds_read2_b64 v[24:27], v154 offset0:56 offset1:108
	v_pk_mul_f32 v[28:29], v[30:31], v[8:9] op_sel:[0,1]
	s_waitcnt vmcnt(2)
	v_mov_b32_e32 v104, v15
	v_pk_fma_f32 v[42:43], v[30:31], v[8:9], v[28:29] op_sel:[0,0,1] op_sel_hi:[1,0,0]
	v_pk_fma_f32 v[48:49], v[30:31], v[8:9], v[28:29] op_sel:[0,0,1] op_sel_hi:[1,0,0] neg_lo:[0,0,1] neg_hi:[0,0,1]
	s_waitcnt lgkmcnt(0)
	v_pk_mul_f32 v[28:29], v[24:25], v[106:107] op_sel_hi:[1,0]
	s_waitcnt vmcnt(1)
	v_mov_b32_e32 v102, v19
	v_pk_fma_f32 v[46:47], v[24:25], v[10:11], v[28:29] op_sel:[0,0,1] op_sel_hi:[1,0,0]
	v_pk_fma_f32 v[50:51], v[24:25], v[10:11], v[28:29] op_sel:[0,0,1] op_sel_hi:[1,0,0] neg_lo:[0,0,1] neg_hi:[0,0,1]
	ds_read2_b64 v[28:31], v154 offset0:160 offset1:212
	v_pk_mul_f32 v[24:25], v[26:27], v[12:13] op_sel:[0,1]
	v_mov_b32_e32 v33, v35
	v_pk_fma_f32 v[52:53], v[26:27], v[12:13], v[24:25] op_sel:[0,0,1] op_sel_hi:[1,0,0]
	v_pk_fma_f32 v[54:55], v[26:27], v[12:13], v[24:25] op_sel:[0,0,1] op_sel_hi:[1,0,0] neg_lo:[0,0,1] neg_hi:[0,0,1]
	s_waitcnt lgkmcnt(0)
	v_pk_mul_f32 v[24:25], v[28:29], v[104:105] op_sel_hi:[1,0]
	ds_read_b64 v[34:35], v72 offset:4992
	v_pk_fma_f32 v[56:57], v[28:29], v[14:15], v[24:25] op_sel:[0,0,1] op_sel_hi:[1,0,0]
	v_pk_fma_f32 v[60:61], v[28:29], v[14:15], v[24:25] op_sel:[0,0,1] op_sel_hi:[1,0,0] neg_lo:[0,0,1] neg_hi:[0,0,1]
	ds_read2_b64 v[26:29], v155 offset0:8 offset1:60
	v_pk_mul_f32 v[24:25], v[30:31], v[16:17] op_sel:[0,1]
	s_waitcnt vmcnt(0)
	v_mov_b32_e32 v110, v23
	v_pk_fma_f32 v[58:59], v[30:31], v[16:17], v[24:25] op_sel:[0,0,1] op_sel_hi:[1,0,0]
	v_pk_fma_f32 v[30:31], v[30:31], v[16:17], v[24:25] op_sel:[0,0,1] op_sel_hi:[1,0,0] neg_lo:[0,0,1] neg_hi:[0,0,1]
	s_waitcnt lgkmcnt(0)
	v_pk_mul_f32 v[24:25], v[26:27], v[102:103] op_sel_hi:[1,0]
	v_pk_mul_f32 v[66:67], v[28:29], v[20:21] op_sel:[0,1]
	v_pk_fma_f32 v[62:63], v[26:27], v[18:19], v[24:25] op_sel:[0,0,1] op_sel_hi:[1,1,0] neg_lo:[0,0,1] neg_hi:[0,0,1]
	v_pk_fma_f32 v[64:65], v[26:27], v[18:19], v[24:25] op_sel:[0,0,1] op_sel_hi:[1,0,0]
	ds_read2_b64 v[24:27], v72 offset1:52
	v_pk_fma_f32 v[68:69], v[28:29], v[20:21], v[66:67] op_sel:[0,0,1] op_sel_hi:[1,1,0] neg_lo:[0,0,1] neg_hi:[0,0,1]
	v_pk_fma_f32 v[28:29], v[28:29], v[20:21], v[66:67] op_sel:[0,0,1] op_sel_hi:[1,0,0]
	v_mov_b32_e32 v37, v39
	v_mov_b32_e32 v28, v5
	s_waitcnt lgkmcnt(0)
	v_pk_mul_f32 v[66:67], v[26:27], v[28:29]
	v_mov_b32_e32 v28, v27
	v_pk_fma_f32 v[66:67], v[28:29], v[4:5], v[66:67]
	v_mov_b32_e32 v69, v29
	v_pk_mul_f32 v[28:29], v[34:35], v[110:111] op_sel_hi:[1,0]
	v_mov_b32_e32 v3, v66
	v_pk_fma_f32 v[38:39], v[34:35], v[22:23], v[28:29] op_sel:[0,0,1] op_sel_hi:[1,1,0] neg_lo:[0,0,1] neg_hi:[0,0,1]
	v_pk_fma_f32 v[28:29], v[34:35], v[22:23], v[28:29] op_sel:[0,0,1] op_sel_hi:[1,0,0]
	v_pk_mul_f32 v[34:35], v[26:27], v[4:5]
	v_mov_b32_e32 v45, v41
	v_mov_b32_e32 v28, v35
	v_pk_fma_f32 v[26:27], v[26:27], v[4:5], v[28:29] neg_lo:[0,0,1] neg_hi:[0,0,1]
	v_mov_b32_e32 v28, v29
	v_mov_b32_e32 v49, v43
	;; [unrolled: 1-line block ×3, first 2 shown]
	v_pk_add_f32 v[34:35], v[66:67], v[28:29]
	v_pk_add_f32 v[42:43], v[66:67], v[28:29] neg_lo:[0,1] neg_hi:[0,1]
	v_pk_add_f32 v[28:29], v[24:25], v[2:3]
	v_pk_add_f32 v[40:41], v[24:25], v[26:27]
	v_mov_b32_e32 v51, v47
	v_mov_b32_e32 v41, v29
	v_pk_add_f32 v[28:29], v[40:41], v[32:33]
	v_mov_b32_e32 v55, v53
	v_pk_add_f32 v[28:29], v[28:29], v[36:37]
	;; [unrolled: 2-line block ×5, first 2 shown]
	v_pk_add_f32 v[58:59], v[48:49], v[60:61]
	v_pk_add_f32 v[28:29], v[28:29], v[54:55]
	v_pk_add_f32 v[64:65], v[48:49], v[60:61] neg_lo:[0,1] neg_hi:[0,1]
	v_pk_add_f32 v[28:29], v[28:29], v[60:61]
	v_pk_add_f32 v[116:117], v[44:45], v[30:31]
	;; [unrolled: 1-line block ×3, first 2 shown]
	v_pk_add_f32 v[126:127], v[44:45], v[30:31] neg_lo:[0,1] neg_hi:[0,1]
	v_pk_add_f32 v[44:45], v[26:27], v[38:39]
	v_pk_add_f32 v[48:49], v[26:27], v[38:39] neg_lo:[0,1] neg_hi:[0,1]
	v_pk_add_f32 v[26:27], v[28:29], v[62:63]
	v_pk_add_f32 v[46:47], v[50:51], v[54:55]
	;; [unrolled: 1-line block ×3, first 2 shown]
	v_pk_add_f32 v[52:53], v[50:51], v[54:55] neg_lo:[0,1] neg_hi:[0,1]
	v_pk_add_f32 v[50:51], v[26:27], v[38:39]
	v_mov_b32_e32 v26, v42
	v_mov_b32_e32 v27, v48
	v_pk_add_f32 v[122:123], v[32:33], v[68:69] neg_lo:[0,1] neg_hi:[0,1]
	v_mov_b32_e32 v45, v34
	v_pk_mul_f32 v[26:27], v[26:27], s[38:39] op_sel_hi:[1,0]
	v_pk_add_f32 v[114:115], v[32:33], v[68:69]
	v_pk_fma_f32 v[30:31], v[44:45], s[46:47], v[26:27] op_sel_hi:[1,0,1] neg_lo:[0,0,1] neg_hi:[0,0,1]
	v_pk_fma_f32 v[28:29], v[44:45], s[46:47], v[26:27] op_sel_hi:[1,0,1]
	s_mov_b32 s38, s3
	v_pk_mul_f32 v[26:27], v[122:123], s[2:3] op_sel:[1,0] op_sel_hi:[0,0]
	v_pk_add_f32 v[112:113], v[36:37], v[62:63]
	v_pk_add_f32 v[120:121], v[36:37], v[62:63] neg_lo:[0,1] neg_hi:[0,1]
	v_pk_fma_f32 v[36:37], v[114:115], s[38:39], v[26:27] op_sel_hi:[1,0,1] neg_lo:[0,0,1] neg_hi:[0,0,1]
	v_pk_fma_f32 v[26:27], v[114:115], s[38:39], v[26:27] op_sel_hi:[1,0,1]
	v_mov_b32_e32 v33, v31
	v_mov_b32_e32 v31, v29
	v_pk_add_f32 v[30:31], v[24:25], v[30:31]
	v_mov_b32_e32 v29, v37
	v_mov_b32_e32 v37, v27
	v_pk_add_f32 v[36:37], v[36:37], v[30:31]
	v_pk_mul_f32 v[30:31], v[120:121], s[12:13] op_sel:[1,0] op_sel_hi:[0,0]
	v_pk_fma_f32 v[38:39], v[112:113], s[50:51], v[30:31] op_sel_hi:[1,0,1] neg_lo:[0,0,1] neg_hi:[0,0,1]
	v_pk_fma_f32 v[30:31], v[112:113], s[50:51], v[30:31] op_sel_hi:[1,0,1]
	v_mov_b32_e32 v27, v39
	v_mov_b32_e32 v39, v31
	v_pk_add_f32 v[38:39], v[38:39], v[36:37]
	v_pk_mul_f32 v[36:37], v[126:127], s[14:15] op_sel:[1,0] op_sel_hi:[0,0]
	v_pk_fma_f32 v[40:41], v[116:117], s[52:53], v[36:37] op_sel_hi:[1,0,1] neg_lo:[0,0,1] neg_hi:[0,0,1]
	v_pk_fma_f32 v[36:37], v[116:117], s[52:53], v[36:37] op_sel_hi:[1,0,1]
	;; [unrolled: 6-line block ×4, first 2 shown]
	v_mov_b32_e32 v45, v48
	v_mov_b32_e32 v39, v57
	;; [unrolled: 1-line block ×3, first 2 shown]
	v_mul_u32_u24_e32 v3, 0xa9, v70
	v_mov_b32_e32 v67, v34
	v_mov_b32_e32 v66, v42
	v_pk_mul_f32 v[68:69], v[44:45], s[34:35]
	v_pk_add_f32 v[54:55], v[56:57], v[54:55]
	v_add_lshl_u32 v167, v3, v71, 3
	v_pk_fma_f32 v[48:49], v[42:43], s[2:3], v[68:69] neg_lo:[1,0,0] neg_hi:[1,0,0]
	v_pk_fma_f32 v[62:63], v[66:67], s[2:3], v[68:69]
	s_waitcnt lgkmcnt(0)
	; wave barrier
	ds_write2_b64 v167, v[50:51], v[54:55] offset1:13
	v_mov_b32_e32 v49, v63
	v_pk_mul_f32 v[50:51], v[122:123], s[14:15] op_sel:[1,0] op_sel_hi:[0,0]
	v_pk_add_f32 v[54:55], v[24:25], v[48:49]
	v_pk_fma_f32 v[48:49], v[114:115], s[52:53], v[50:51] op_sel_hi:[1,0,1] neg_lo:[0,0,1] neg_hi:[0,0,1]
	v_pk_fma_f32 v[50:51], v[114:115], s[52:53], v[50:51] op_sel_hi:[1,0,1]
	v_mov_b32_e32 v56, v48
	v_mov_b32_e32 v57, v51
	v_pk_add_f32 v[60:61], v[56:57], v[54:55]
	v_pk_mul_f32 v[56:57], v[120:121], s[18:19] op_sel:[1,0] op_sel_hi:[0,0]
	v_pk_fma_f32 v[54:55], v[112:113], s[54:55], v[56:57] op_sel_hi:[1,0,1] neg_lo:[0,0,1] neg_hi:[0,0,1]
	v_pk_fma_f32 v[56:57], v[112:113], s[54:55], v[56:57] op_sel_hi:[1,0,1]
	v_mov_b32_e32 v70, v54
	v_mov_b32_e32 v71, v57
	v_pk_add_f32 v[70:71], v[70:71], v[60:61]
	v_pk_mul_f32 v[60:61], v[126:127], s[36:37] op_sel:[1,0] op_sel_hi:[0,0]
	;; [unrolled: 6-line block ×4, first 2 shown]
	v_pk_fma_f32 v[130:131], v[46:47], s[46:47], v[124:125] op_sel_hi:[1,0,1] neg_lo:[0,0,1] neg_hi:[0,0,1]
	v_pk_fma_f32 v[124:125], v[46:47], s[46:47], v[124:125] op_sel_hi:[1,0,1]
	v_mov_b32_e32 v134, v130
	v_mov_b32_e32 v135, v125
	v_pk_mul_f32 v[152:153], v[44:45], s[30:31]
	v_pk_add_f32 v[156:157], v[134:135], v[132:133]
	v_pk_fma_f32 v[132:133], v[42:43], s[12:13], v[152:153] neg_lo:[1,0,0] neg_hi:[1,0,0]
	v_pk_fma_f32 v[136:137], v[66:67], s[12:13], v[152:153]
	v_pk_mul_f32 v[134:135], v[122:123], s[18:19] op_sel:[1,0] op_sel_hi:[0,0]
	v_mov_b32_e32 v133, v137
	v_pk_add_f32 v[138:139], v[24:25], v[132:133]
	v_pk_fma_f32 v[132:133], v[114:115], s[54:55], v[134:135] op_sel_hi:[1,0,1] neg_lo:[0,0,1] neg_hi:[0,0,1]
	v_pk_fma_f32 v[134:135], v[114:115], s[54:55], v[134:135] op_sel_hi:[1,0,1]
	v_mov_b32_e32 v140, v132
	v_mov_b32_e32 v141, v135
	v_pk_add_f32 v[142:143], v[140:141], v[138:139]
	v_pk_mul_f32 v[140:141], v[120:121], s[44:45] op_sel:[1,0] op_sel_hi:[0,0]
	v_pk_fma_f32 v[138:139], v[112:113], s[52:53], v[140:141] op_sel_hi:[1,0,1] neg_lo:[0,0,1] neg_hi:[0,0,1]
	v_pk_fma_f32 v[140:141], v[112:113], s[52:53], v[140:141] op_sel_hi:[1,0,1]
	v_mov_b32_e32 v144, v138
	v_mov_b32_e32 v145, v141
	v_pk_add_f32 v[144:145], v[144:145], v[142:143]
	v_pk_mul_f32 v[142:143], v[126:127], s[26:27] op_sel:[1,0] op_sel_hi:[0,0]
	;; [unrolled: 6-line block ×4, first 2 shown]
	v_pk_fma_f32 v[160:161], v[46:47], s[48:49], v[148:149] op_sel_hi:[1,0,1] neg_lo:[0,0,1] neg_hi:[0,0,1]
	v_pk_fma_f32 v[148:149], v[46:47], s[48:49], v[148:149] op_sel_hi:[1,0,1]
	v_mov_b32_e32 v162, v160
	v_mov_b32_e32 v163, v149
	v_pk_add_f32 v[158:159], v[162:163], v[158:159]
	ds_write2_b64 v167, v[156:157], v[158:159] offset0:26 offset1:39
	v_pk_mul_f32 v[156:157], v[44:45], s[24:25]
	v_pk_mul_f32 v[164:165], v[122:123], s[36:37] op_sel:[1,0] op_sel_hi:[0,0]
	v_pk_fma_f32 v[158:159], v[42:43], s[14:15], v[156:157] neg_lo:[1,0,0] neg_hi:[1,0,0]
	v_pk_fma_f32 v[162:163], v[66:67], s[14:15], v[156:157]
	v_pk_fma_f32 v[168:169], v[114:115], s[48:49], v[164:165] op_sel_hi:[1,0,1] neg_lo:[0,0,1] neg_hi:[0,0,1]
	v_mov_b32_e32 v159, v163
	v_pk_fma_f32 v[164:165], v[114:115], s[48:49], v[164:165] op_sel_hi:[1,0,1]
	v_pk_add_f32 v[158:159], v[24:25], v[158:159]
	v_mov_b32_e32 v170, v168
	v_mov_b32_e32 v171, v165
	v_pk_add_f32 v[158:159], v[170:171], v[158:159]
	v_pk_mul_f32 v[170:171], v[120:121], s[26:27] op_sel:[1,0] op_sel_hi:[0,0]
	v_pk_fma_f32 v[172:173], v[112:113], s[46:47], v[170:171] op_sel_hi:[1,0,1] neg_lo:[0,0,1] neg_hi:[0,0,1]
	v_pk_fma_f32 v[170:171], v[112:113], s[46:47], v[170:171] op_sel_hi:[1,0,1]
	v_mov_b32_e32 v174, v172
	v_mov_b32_e32 v175, v171
	v_pk_add_f32 v[158:159], v[174:175], v[158:159]
	v_pk_mul_f32 v[174:175], v[126:127], s[12:13] op_sel:[1,0] op_sel_hi:[0,0]
	v_pk_fma_f32 v[176:177], v[116:117], s[50:51], v[174:175] op_sel_hi:[1,0,1] neg_lo:[0,0,1] neg_hi:[0,0,1]
	v_pk_fma_f32 v[174:175], v[116:117], s[50:51], v[174:175] op_sel_hi:[1,0,1]
	v_mov_b32_e32 v178, v176
	v_mov_b32_e32 v179, v175
	v_pk_add_f32 v[158:159], v[178:179], v[158:159]
	v_pk_mul_f32 v[178:179], v[64:65], s[42:43] op_sel:[1,0] op_sel_hi:[0,0]
	v_pk_fma_f32 v[180:181], v[58:59], s[54:55], v[178:179] op_sel_hi:[1,0,1] neg_lo:[0,0,1] neg_hi:[0,0,1]
	v_pk_fma_f32 v[178:179], v[58:59], s[54:55], v[178:179] op_sel_hi:[1,0,1]
	v_mov_b32_e32 v182, v180
	v_mov_b32_e32 v183, v179
	v_pk_add_f32 v[158:159], v[182:183], v[158:159]
	v_pk_mul_f32 v[182:183], v[52:53], s[40:41] op_sel:[1,0] op_sel_hi:[0,0]
	v_pk_fma_f32 v[184:185], v[46:47], s[38:39], v[182:183] op_sel_hi:[1,0,1] neg_lo:[0,0,1] neg_hi:[0,0,1]
	v_pk_fma_f32 v[182:183], v[46:47], s[38:39], v[182:183] op_sel_hi:[1,0,1]
	v_mov_b32_e32 v186, v184
	v_mov_b32_e32 v187, v183
	v_pk_add_f32 v[158:159], v[186:187], v[158:159]
	v_pk_mul_f32 v[186:187], v[44:45], s[22:23]
	v_pk_mul_f32 v[192:193], v[122:123], s[28:29] op_sel:[1,0] op_sel_hi:[0,0]
	v_pk_fma_f32 v[188:189], v[42:43], s[16:17], v[186:187] neg_lo:[1,0,0] neg_hi:[1,0,0]
	v_pk_fma_f32 v[190:191], v[66:67], s[16:17], v[186:187]
	v_pk_fma_f32 v[194:195], v[114:115], s[50:51], v[192:193] op_sel_hi:[1,0,1] neg_lo:[0,0,1] neg_hi:[0,0,1]
	v_mov_b32_e32 v189, v191
	v_pk_fma_f32 v[192:193], v[114:115], s[50:51], v[192:193] op_sel_hi:[1,0,1]
	v_pk_add_f32 v[188:189], v[24:25], v[188:189]
	v_mov_b32_e32 v196, v194
	v_mov_b32_e32 v197, v193
	v_pk_add_f32 v[188:189], v[196:197], v[188:189]
	v_pk_mul_f32 v[196:197], v[120:121], s[2:3] op_sel:[1,0] op_sel_hi:[0,0]
	v_pk_fma_f32 v[198:199], v[112:113], s[38:39], v[196:197] op_sel_hi:[1,0,1] neg_lo:[0,0,1] neg_hi:[0,0,1]
	v_pk_fma_f32 v[196:197], v[112:113], s[38:39], v[196:197] op_sel_hi:[1,0,1]
	v_mov_b32_e32 v200, v198
	v_mov_b32_e32 v201, v197
	v_pk_add_f32 v[188:189], v[200:201], v[188:189]
	v_pk_mul_f32 v[200:201], v[126:127], s[42:43] op_sel:[1,0] op_sel_hi:[0,0]
	v_pk_fma_f32 v[202:203], v[116:117], s[54:55], v[200:201] op_sel_hi:[1,0,1] neg_lo:[0,0,1] neg_hi:[0,0,1]
	v_pk_fma_f32 v[200:201], v[116:117], s[54:55], v[200:201] op_sel_hi:[1,0,1]
	;; [unrolled: 6-line block ×4, first 2 shown]
	v_mov_b32_e32 v212, v210
	v_mov_b32_e32 v213, v209
	v_pk_add_f32 v[188:189], v[212:213], v[188:189]
	v_pk_mul_f32 v[126:127], v[126:127], s[40:41] op_sel:[1,0] op_sel_hi:[0,0]
	v_pk_mul_f32 v[64:65], v[64:65], s[14:15] op_sel:[1,0] op_sel_hi:[0,0]
	;; [unrolled: 1-line block ×3, first 2 shown]
	ds_write2_b64 v167, v[158:159], v[188:189] offset0:52 offset1:65
	v_pk_fma_f32 v[158:159], v[116:117], s[38:39], v[126:127] op_sel_hi:[1,0,1] neg_lo:[0,0,1] neg_hi:[0,0,1]
	v_pk_fma_f32 v[116:117], v[116:117], s[38:39], v[126:127] op_sel_hi:[1,0,1]
	v_pk_fma_f32 v[126:127], v[58:59], s[52:53], v[64:65] op_sel_hi:[1,0,1] neg_lo:[0,0,1] neg_hi:[0,0,1]
	v_pk_fma_f32 v[58:59], v[58:59], s[52:53], v[64:65] op_sel_hi:[1,0,1]
	;; [unrolled: 2-line block ×3, first 2 shown]
	v_pk_mul_f32 v[52:53], v[122:123], s[26:27] op_sel:[1,0] op_sel_hi:[0,0]
	v_pk_mul_f32 v[44:45], v[44:45], s[20:21]
	v_pk_fma_f32 v[122:123], v[114:115], s[46:47], v[52:53] op_sel_hi:[1,0,1] neg_lo:[0,0,1] neg_hi:[0,0,1]
	v_pk_fma_f32 v[52:53], v[114:115], s[46:47], v[52:53] op_sel_hi:[1,0,1]
	v_pk_fma_f32 v[42:43], v[42:43], s[18:19], v[44:45] neg_lo:[1,0,0] neg_hi:[1,0,0]
	v_pk_fma_f32 v[114:115], v[66:67], s[18:19], v[44:45]
	v_pk_fma_f32 v[44:45], v[66:67], s[18:19], v[44:45] neg_lo:[0,0,1] neg_hi:[0,0,1]
	v_mov_b32_e32 v43, v115
	v_pk_add_f32 v[42:43], v[24:25], v[42:43]
	v_mov_b32_e32 v188, v122
	v_mov_b32_e32 v189, v53
	v_pk_mul_f32 v[120:121], v[120:121], s[16:17] op_sel:[1,0] op_sel_hi:[0,0]
	v_mov_b32_e32 v115, v45
	v_pk_add_f32 v[42:43], v[188:189], v[42:43]
	v_pk_fma_f32 v[188:189], v[112:113], s[48:49], v[120:121] op_sel_hi:[1,0,1] neg_lo:[0,0,1] neg_hi:[0,0,1]
	v_pk_fma_f32 v[112:113], v[112:113], s[48:49], v[120:121] op_sel_hi:[1,0,1]
	v_mov_b32_e32 v53, v123
	v_pk_add_f32 v[44:45], v[24:25], v[114:115]
	v_mov_b32_e32 v120, v188
	v_mov_b32_e32 v121, v113
	v_pk_add_f32 v[44:45], v[52:53], v[44:45]
	v_mov_b32_e32 v113, v189
	v_pk_add_f32 v[42:43], v[120:121], v[42:43]
	v_mov_b32_e32 v120, v158
	v_mov_b32_e32 v121, v117
	v_mov_b32_e32 v117, v159
	v_pk_add_f32 v[44:45], v[112:113], v[44:45]
	v_pk_add_f32 v[42:43], v[120:121], v[42:43]
	v_mov_b32_e32 v120, v126
	v_mov_b32_e32 v121, v59
	v_mov_b32_e32 v59, v127
	v_pk_add_f32 v[44:45], v[116:117], v[44:45]
	;; [unrolled: 5-line block ×3, first 2 shown]
	v_pk_add_f32 v[42:43], v[120:121], v[42:43]
	v_pk_add_f32 v[44:45], v[46:47], v[44:45]
	ds_write2_b64 v167, v[42:43], v[44:45] offset0:78 offset1:91
	v_pk_fma_f32 v[42:43], v[66:67], s[16:17], v[186:187] neg_lo:[0,0,1] neg_hi:[0,0,1]
	v_pk_fma_f32 v[44:45], v[66:67], s[14:15], v[156:157] neg_lo:[0,0,1] neg_hi:[0,0,1]
	v_mov_b32_e32 v191, v43
	v_mov_b32_e32 v163, v45
	;; [unrolled: 1-line block ×3, first 2 shown]
	v_pk_add_f32 v[42:43], v[24:25], v[190:191]
	v_mov_b32_e32 v165, v169
	v_pk_add_f32 v[44:45], v[24:25], v[162:163]
	v_pk_add_f32 v[42:43], v[192:193], v[42:43]
	v_mov_b32_e32 v197, v199
	v_pk_add_f32 v[44:45], v[164:165], v[44:45]
	v_mov_b32_e32 v171, v173
	v_mov_b32_e32 v201, v203
	v_pk_add_f32 v[42:43], v[196:197], v[42:43]
	v_mov_b32_e32 v175, v177
	v_pk_add_f32 v[44:45], v[170:171], v[44:45]
	;; [unrolled: 2-line block ×6, first 2 shown]
	v_pk_add_f32 v[42:43], v[208:209], v[42:43]
	v_pk_add_f32 v[44:45], v[182:183], v[44:45]
	ds_write2_b64 v167, v[42:43], v[44:45] offset0:104 offset1:117
	v_pk_fma_f32 v[42:43], v[66:67], s[12:13], v[152:153] neg_lo:[0,0,1] neg_hi:[0,0,1]
	v_mov_b32_e32 v32, v28
	v_mov_b32_e32 v137, v43
	v_pk_fma_f32 v[42:43], v[66:67], s[2:3], v[68:69] neg_lo:[0,0,1] neg_hi:[0,0,1]
	v_pk_add_f32 v[32:33], v[24:25], v[32:33]
	v_mov_b32_e32 v63, v43
	v_pk_add_f32 v[42:43], v[24:25], v[136:137]
	v_pk_add_f32 v[24:25], v[24:25], v[62:63]
	v_mov_b32_e32 v135, v133
	v_mov_b32_e32 v51, v49
	v_pk_add_f32 v[42:43], v[134:135], v[42:43]
	v_mov_b32_e32 v141, v139
	v_pk_add_f32 v[24:25], v[50:51], v[24:25]
	v_mov_b32_e32 v57, v55
	v_mov_b32_e32 v143, v147
	v_pk_add_f32 v[42:43], v[140:141], v[42:43]
	v_mov_b32_e32 v61, v119
	v_pk_add_f32 v[24:25], v[56:57], v[24:25]
	;; [unrolled: 2-line block ×6, first 2 shown]
	v_pk_add_f32 v[42:43], v[148:149], v[42:43]
	v_pk_add_f32 v[24:25], v[124:125], v[24:25]
	v_mov_b32_e32 v28, v26
	ds_write2_b64 v167, v[42:43], v[24:25] offset0:130 offset1:143
	v_pk_add_f32 v[24:25], v[28:29], v[32:33]
	v_mov_b32_e32 v26, v30
	v_mov_b32_e32 v34, v36
	v_pk_add_f32 v[24:25], v[26:27], v[24:25]
	v_mov_b32_e32 v36, v38
	v_pk_add_f32 v[24:25], v[34:35], v[24:25]
	;; [unrolled: 2-line block ×3, first 2 shown]
	s_load_dwordx2 s[2:3], s[0:1], 0x38
	v_pk_add_f32 v[44:45], v[38:39], v[24:25]
	ds_write_b64 v167, v[44:45] offset:1248
	s_waitcnt lgkmcnt(0)
	; wave barrier
	s_waitcnt lgkmcnt(0)
	ds_read2_b64 v[64:67], v154 offset0:82 offset1:134
	ds_read2_b64 v[52:55], v154 offset0:186 offset1:251
	ds_read2_b64 v[48:51], v155 offset0:47 offset1:99
	ds_read2_b64 v[60:63], v72 offset1:52
	ds_read2_b64 v[40:43], v72 offset0:104 offset1:169
	ds_read2_b64 v[56:59], v73 offset0:93 offset1:145
	v_mov_b32_e32 v136, v13
	v_mov_b32_e32 v138, v9
	;; [unrolled: 1-line block ×4, first 2 shown]
                                        ; implicit-def: $vgpr140
                                        ; implicit-def: $vgpr70
	s_and_saveexec_b64 s[0:1], vcc
	s_cbranch_execz .LBB0_3
; %bb.2:
	v_add_u32_e32 v3, 0xe00, v72
	ds_read2_b64 v[68:71], v3 offset0:46 offset1:215
	ds_read2_b64 v[44:47], v73 offset0:28 offset1:197
	s_waitcnt lgkmcnt(1)
	v_mov_b32_e32 v140, v69
.LBB0_3:
	s_or_b64 exec, exec, s[0:1]
	v_mad_u64_u32 v[120:121], s[0:1], v166, 24, s[10:11]
	global_load_dwordx4 v[36:39], v[120:121], off offset:1248
	global_load_dwordx4 v[32:35], v[120:121], off offset:2496
	;; [unrolled: 1-line block ×3, first 2 shown]
	global_load_dwordx2 v[114:115], v[120:121], off offset:1264
	v_add_u32_e32 v3, 0x9c, v166
	v_add_u32_e32 v9, -13, v166
	v_cndmask_b32_e32 v3, v9, v3, vcc
	v_mul_hi_i32_i24_e32 v25, 24, v3
	v_mul_i32_i24_e32 v24, 24, v3
	v_lshl_add_u64 v[122:123], s[10:11], 0, v[24:25]
	global_load_dwordx4 v[24:27], v[122:123], off offset:1248
	global_load_dwordx2 v[112:113], v[122:123], off offset:1264
	global_load_dwordx2 v[118:119], v[120:121], off offset:2512
	;; [unrolled: 1-line block ×3, first 2 shown]
	s_waitcnt lgkmcnt(0)
	v_mov_b32_e32 v142, v47
	v_mov_b32_e32 v144, v71
	;; [unrolled: 1-line block ×20, first 2 shown]
	s_waitcnt vmcnt(7)
	v_mov_b32_e32 v124, v39
	v_pk_mul_f32 v[146:147], v[42:43], v[36:37] op_sel:[0,1]
	s_waitcnt vmcnt(6)
	v_pk_mul_f32 v[150:151], v[56:57], v[32:33] op_sel:[0,1]
	s_waitcnt vmcnt(4)
	v_pk_mul_f32 v[148:149], v[54:55], v[114:115] op_sel:[0,1]
	v_pk_fma_f32 v[152:153], v[42:43], v[36:37], v[146:147] op_sel:[0,0,1] op_sel_hi:[1,1,0] neg_lo:[0,0,1] neg_hi:[0,0,1]
	v_pk_fma_f32 v[42:43], v[42:43], v[36:37], v[146:147] op_sel:[0,0,1] op_sel_hi:[1,0,0]
	v_pk_mul_f32 v[146:147], v[64:65], v[124:125] op_sel_hi:[1,0]
	v_pk_fma_f32 v[154:155], v[54:55], v[114:115], v[148:149] op_sel:[0,0,1] op_sel_hi:[1,1,0] neg_lo:[0,0,1] neg_hi:[0,0,1]
	v_pk_fma_f32 v[54:55], v[54:55], v[114:115], v[148:149] op_sel:[0,0,1] op_sel_hi:[1,0,0]
	v_mov_b32_e32 v153, v43
	v_pk_fma_f32 v[42:43], v[64:65], v[38:39], v[146:147] op_sel:[0,0,1] op_sel_hi:[1,1,0] neg_lo:[0,0,1] neg_hi:[0,0,1]
	v_pk_fma_f32 v[64:65], v[64:65], v[38:39], v[146:147] op_sel:[0,0,1] op_sel_hi:[1,0,0]
	v_mov_b32_e32 v155, v55
	s_waitcnt vmcnt(3)
	v_pk_mul_f32 v[54:55], v[46:47], v[24:25] op_sel_hi:[0,1]
	v_pk_mul_f32 v[140:141], v[140:141], v[26:27] op_sel_hi:[0,1]
	s_waitcnt vmcnt(2)
	v_pk_mul_f32 v[146:147], v[70:71], v[112:113] op_sel_hi:[0,1]
	v_mov_b32_e32 v43, v65
	v_pk_fma_f32 v[46:47], v[46:47], v[24:25], v[54:55] op_sel:[0,0,1] op_sel_hi:[1,1,0] neg_lo:[1,0,0] neg_hi:[1,0,0]
	v_pk_fma_f32 v[142:143], v[142:143], v[24:25], v[54:55] op_sel:[0,0,1] op_sel_hi:[0,1,0]
	v_pk_fma_f32 v[54:55], v[68:69], v[26:27], v[140:141] op_sel:[0,0,1] op_sel_hi:[0,1,0]
	v_pk_fma_f32 v[68:69], v[68:69], v[26:27], v[140:141] op_sel:[0,0,1] op_sel_hi:[0,1,0] neg_lo:[0,0,1] neg_hi:[0,0,1]
	v_pk_fma_f32 v[70:71], v[70:71], v[112:113], v[146:147] op_sel:[0,0,1] op_sel_hi:[1,1,0] neg_lo:[1,0,0] neg_hi:[1,0,0]
	v_pk_fma_f32 v[140:141], v[144:145], v[112:113], v[146:147] op_sel:[0,0,1] op_sel_hi:[0,1,0]
	v_pk_add_f32 v[64:65], v[152:153], v[154:155] neg_lo:[0,1] neg_hi:[0,1]
	v_pk_add_f32 v[42:43], v[60:61], v[42:43] neg_lo:[0,1] neg_hi:[0,1]
	v_mov_b32_e32 v143, v47
	v_mov_b32_e32 v69, v55
	;; [unrolled: 1-line block ×3, first 2 shown]
	v_pk_fma_f32 v[144:145], v[152:153], 2.0, v[64:65] op_sel_hi:[1,0,1] neg_lo:[0,0,1] neg_hi:[0,0,1]
	v_pk_add_f32 v[70:71], v[42:43], v[64:65] op_sel:[0,1] op_sel_hi:[1,0] neg_lo:[0,1] neg_hi:[0,1]
	v_pk_add_f32 v[46:47], v[42:43], v[64:65] op_sel:[0,1] op_sel_hi:[1,0]
	v_pk_add_f32 v[64:65], v[44:45], v[68:69] neg_lo:[0,1] neg_hi:[0,1]
	v_pk_add_f32 v[68:69], v[142:143], v[140:141] neg_lo:[0,1] neg_hi:[0,1]
	v_mov_b32_e32 v122, v35
	v_pk_fma_f32 v[148:149], v[56:57], v[32:33], v[150:151] op_sel:[0,0,1] op_sel_hi:[1,1,0] neg_lo:[0,0,1] neg_hi:[0,0,1]
	v_pk_fma_f32 v[56:57], v[56:57], v[32:33], v[150:151] op_sel:[0,0,1] op_sel_hi:[1,0,0]
	v_pk_fma_f32 v[60:61], v[60:61], 2.0, v[42:43] op_sel_hi:[1,0,1] neg_lo:[0,0,1] neg_hi:[0,0,1]
	v_mov_b32_e32 v71, v47
	v_pk_fma_f32 v[54:55], v[44:45], 2.0, v[64:65] op_sel_hi:[1,0,1] neg_lo:[0,0,1] neg_hi:[0,0,1]
	v_pk_fma_f32 v[44:45], v[142:143], 2.0, v[68:69] op_sel_hi:[1,0,1] neg_lo:[0,0,1] neg_hi:[0,0,1]
	v_pk_add_f32 v[142:143], v[64:65], v[68:69]
	v_pk_add_f32 v[46:47], v[64:65], v[68:69] neg_lo:[0,1] neg_hi:[0,1]
	v_pk_add_f32 v[140:141], v[60:61], v[144:145] neg_lo:[0,1] neg_hi:[0,1]
	v_pk_fma_f32 v[42:43], v[42:43], 2.0, v[70:71] op_sel_hi:[1,0,1] neg_lo:[0,0,1] neg_hi:[0,0,1]
	v_mov_b32_e32 v47, v143
	v_mov_b32_e32 v149, v57
	v_pk_mul_f32 v[56:57], v[66:67], v[122:123] op_sel_hi:[1,0]
	ds_write_b64 v72, v[140:141] offset:2704
	ds_write_b64 v72, v[70:71] offset:4056
	;; [unrolled: 1-line block ×3, first 2 shown]
	v_pk_fma_f32 v[42:43], v[64:65], 2.0, v[46:47] op_sel_hi:[1,0,1] neg_lo:[0,0,1] neg_hi:[0,0,1]
	v_pk_fma_f32 v[64:65], v[66:67], v[34:35], v[56:57] op_sel:[0,0,1] op_sel_hi:[1,1,0] neg_lo:[0,0,1] neg_hi:[0,0,1]
	v_pk_fma_f32 v[56:57], v[66:67], v[34:35], v[56:57] op_sel:[0,0,1] op_sel_hi:[1,0,0]
	v_pk_fma_f32 v[60:61], v[60:61], 2.0, v[140:141] op_sel_hi:[1,0,1] neg_lo:[0,0,1] neg_hi:[0,0,1]
	v_mov_b32_e32 v65, v57
	s_waitcnt vmcnt(1)
	v_pk_mul_f32 v[56:57], v[48:49], v[118:119] op_sel:[0,1]
	v_mov_b32_e32 v120, v31
	v_pk_fma_f32 v[66:67], v[48:49], v[118:119], v[56:57] op_sel:[0,0,1] op_sel_hi:[1,1,0] neg_lo:[0,0,1] neg_hi:[0,0,1]
	v_pk_fma_f32 v[48:49], v[48:49], v[118:119], v[56:57] op_sel:[0,0,1] op_sel_hi:[1,0,0]
	v_mov_b32_e32 v130, v37
	v_mov_b32_e32 v67, v49
	v_pk_add_f32 v[48:49], v[62:63], v[64:65] neg_lo:[0,1] neg_hi:[0,1]
	v_mov_b32_e32 v128, v33
	v_pk_fma_f32 v[56:57], v[62:63], 2.0, v[48:49] op_sel_hi:[1,0,1] neg_lo:[0,0,1] neg_hi:[0,0,1]
	v_pk_add_f32 v[62:63], v[148:149], v[66:67] neg_lo:[0,1] neg_hi:[0,1]
	v_mov_b32_e32 v126, v29
	v_pk_fma_f32 v[64:65], v[148:149], 2.0, v[62:63] op_sel_hi:[1,0,1] neg_lo:[0,0,1] neg_hi:[0,0,1]
	v_pk_add_f32 v[44:45], v[54:55], v[44:45] op_sel:[0,1] op_sel_hi:[1,0] neg_lo:[0,1] neg_hi:[0,1]
	v_pk_add_f32 v[64:65], v[56:57], v[64:65] neg_lo:[0,1] neg_hi:[0,1]
	s_nop 0
	v_pk_fma_f32 v[56:57], v[56:57], 2.0, v[64:65] op_sel_hi:[1,0,1] neg_lo:[0,0,1] neg_hi:[0,0,1]
	ds_write2_b64 v72, v[60:61], v[56:57] offset1:52
	v_pk_add_f32 v[56:57], v[48:49], v[62:63] op_sel:[0,1] op_sel_hi:[1,0] neg_lo:[0,1] neg_hi:[0,1]
	v_pk_add_f32 v[60:61], v[48:49], v[62:63] op_sel:[0,1] op_sel_hi:[1,0]
	s_nop 0
	v_mov_b32_e32 v57, v61
	v_pk_fma_f32 v[48:49], v[48:49], 2.0, v[56:57] op_sel_hi:[1,0,1] neg_lo:[0,0,1] neg_hi:[0,0,1]
	ds_write_b64 v72, v[64:65] offset:3120
	ds_write_b64 v72, v[56:57] offset:4472
	v_pk_mul_f32 v[56:57], v[58:59], v[28:29] op_sel:[0,1]
	s_nop 0
	v_pk_fma_f32 v[60:61], v[58:59], v[28:29], v[56:57] op_sel:[0,0,1] op_sel_hi:[1,1,0] neg_lo:[0,0,1] neg_hi:[0,0,1]
	v_pk_fma_f32 v[56:57], v[58:59], v[28:29], v[56:57] op_sel:[0,0,1] op_sel_hi:[1,0,0]
	s_nop 0
	v_mov_b32_e32 v61, v57
	v_pk_mul_f32 v[56:57], v[52:53], v[120:121] op_sel_hi:[1,0]
	s_nop 0
	v_pk_fma_f32 v[58:59], v[52:53], v[30:31], v[56:57] op_sel:[0,0,1] op_sel_hi:[1,1,0] neg_lo:[0,0,1] neg_hi:[0,0,1]
	v_pk_fma_f32 v[52:53], v[52:53], v[30:31], v[56:57] op_sel:[0,0,1] op_sel_hi:[1,0,0]
	s_nop 0
	v_mov_b32_e32 v59, v53
	s_waitcnt vmcnt(0)
	v_pk_mul_f32 v[52:53], v[50:51], v[116:117] op_sel:[0,1]
	s_nop 0
	v_pk_fma_f32 v[56:57], v[50:51], v[116:117], v[52:53] op_sel:[0,0,1] op_sel_hi:[1,1,0] neg_lo:[0,0,1] neg_hi:[0,0,1]
	v_pk_fma_f32 v[50:51], v[50:51], v[116:117], v[52:53] op_sel:[0,0,1] op_sel_hi:[1,0,0]
	s_nop 0
	v_mov_b32_e32 v57, v51
	v_pk_add_f32 v[50:51], v[40:41], v[58:59] neg_lo:[0,1] neg_hi:[0,1]
	v_pk_add_f32 v[52:53], v[60:61], v[56:57] neg_lo:[0,1] neg_hi:[0,1]
	v_pk_fma_f32 v[40:41], v[40:41], 2.0, v[50:51] op_sel_hi:[1,0,1] neg_lo:[0,0,1] neg_hi:[0,0,1]
	v_pk_fma_f32 v[56:57], v[60:61], 2.0, v[52:53] op_sel_hi:[1,0,1] neg_lo:[0,0,1] neg_hi:[0,0,1]
	s_nop 0
	v_pk_add_f32 v[56:57], v[40:41], v[56:57] neg_lo:[0,1] neg_hi:[0,1]
	s_nop 0
	v_pk_fma_f32 v[40:41], v[40:41], 2.0, v[56:57] op_sel_hi:[1,0,1] neg_lo:[0,0,1] neg_hi:[0,0,1]
	ds_write_b64 v72, v[40:41] offset:832
	v_pk_add_f32 v[40:41], v[50:51], v[52:53] op_sel:[0,1] op_sel_hi:[1,0] neg_lo:[0,1] neg_hi:[0,1]
	v_pk_add_f32 v[52:53], v[50:51], v[52:53] op_sel:[0,1] op_sel_hi:[1,0]
	s_nop 0
	v_mov_b32_e32 v41, v53
	v_pk_fma_f32 v[50:51], v[50:51], 2.0, v[40:41] op_sel_hi:[1,0,1] neg_lo:[0,0,1] neg_hi:[0,0,1]
	ds_write2_b64 v73, v[48:49], v[50:51] offset0:93 offset1:145
	ds_write_b64 v72, v[56:57] offset:3536
	ds_write_b64 v72, v[40:41] offset:4888
	s_and_saveexec_b64 s[0:1], vcc
	s_cbranch_execz .LBB0_5
; %bb.4:
	v_pk_fma_f32 v[40:41], v[54:55], 2.0, v[44:45] op_sel_hi:[1,0,1] neg_lo:[0,0,1] neg_hi:[0,0,1]
	v_add_u32_e32 v29, 0x400, v72
	ds_write2_b64 v29, v[40:41], v[42:43] offset0:28 offset1:197
	v_add_u32_e32 v29, 0xe00, v72
	ds_write2_b64 v29, v[44:45], v[46:47] offset0:46 offset1:215
.LBB0_5:
	s_or_b64 exec, exec, s[0:1]
	v_mov_b32_e32 v73, 0
	v_lshl_add_u64 v[40:41], s[8:9], 0, v[72:73]
	s_mov_b64 s[0:1], 0x1520
	s_movk_i32 s8, 0x1000
	v_lshl_add_u64 v[48:49], v[40:41], 0, s[0:1]
	v_add_co_u32_e64 v50, s[0:1], s8, v40
	s_waitcnt lgkmcnt(0)
	; wave barrier
	s_waitcnt lgkmcnt(0)
	global_load_dwordx2 v[52:53], v[48:49], off offset:416
	v_addc_co_u32_e64 v51, s[0:1], 0, v41, s[0:1]
	global_load_dwordx2 v[54:55], v[50:51], off offset:1312
	global_load_dwordx2 v[68:69], v[48:49], off offset:832
	s_movk_i32 s0, 0x2000
	v_add_co_u32_e64 v40, s[0:1], s0, v40
	global_load_dwordx2 v[70:71], v[48:49], off offset:1248
	global_load_dwordx2 v[140:141], v[48:49], off offset:1664
	;; [unrolled: 1-line block ×4, first 2 shown]
	v_addc_co_u32_e64 v41, s[0:1], 0, v41, s[0:1]
	global_load_dwordx2 v[146:147], v[48:49], off offset:2912
	global_load_dwordx2 v[148:149], v[48:49], off offset:3328
	;; [unrolled: 1-line block ×5, first 2 shown]
	s_nop 0
	global_load_dwordx2 v[40:41], v[40:41], off offset:2208
	ds_read2_b64 v[48:51], v72 offset1:52
	v_add_u32_e32 v73, 0x400, v72
	v_add_u32_e32 v168, 0x800, v72
	;; [unrolled: 1-line block ×3, first 2 shown]
	s_mov_b32 s42, 0xbeedf032
	s_mov_b32 s0, 0x3f62ad3f
	;; [unrolled: 1-line block ×18, first 2 shown]
	v_mov_b32_e32 v131, v130
	v_mov_b32_e32 v125, v124
	;; [unrolled: 1-line block ×5, first 2 shown]
	s_waitcnt vmcnt(12) lgkmcnt(0)
	v_mul_f32_e32 v29, v51, v53
	v_mul_f32_e32 v57, v50, v53
	s_waitcnt vmcnt(11)
	v_mul_f32_e32 v31, v49, v55
	v_mul_f32_e32 v53, v48, v55
	v_fma_f32 v56, v50, v52, -v29
	v_fmac_f32_e32 v57, v51, v52
	v_fma_f32 v52, v48, v54, -v31
	v_fmac_f32_e32 v53, v49, v54
	ds_write2_b64 v72, v[52:53], v[56:57] offset1:52
	ds_read2_b64 v[48:51], v72 offset0:104 offset1:156
	ds_read2_b64 v[52:55], v73 offset0:80 offset1:132
	;; [unrolled: 1-line block ×5, first 2 shown]
	ds_read_b64 v[156:157], v72 offset:4992
	s_waitcnt vmcnt(10) lgkmcnt(5)
	v_mul_f32_e32 v159, v48, v69
	v_mul_f32_e32 v29, v49, v69
	s_waitcnt vmcnt(9)
	v_mul_f32_e32 v31, v51, v71
	v_mul_f32_e32 v69, v50, v71
	s_waitcnt vmcnt(8) lgkmcnt(4)
	v_mul_f32_e32 v33, v53, v141
	v_mul_f32_e32 v71, v52, v141
	s_waitcnt vmcnt(7)
	v_mul_f32_e32 v35, v55, v143
	v_mul_f32_e32 v141, v54, v143
	s_waitcnt vmcnt(6) lgkmcnt(3)
	v_mul_f32_e32 v37, v57, v145
	v_mul_f32_e32 v143, v56, v145
	s_waitcnt vmcnt(0) lgkmcnt(0)
	v_mul_f32_e32 v78, v157, v41
	v_fmac_f32_e32 v159, v49, v68
	v_mul_f32_e32 v49, v156, v41
	v_mul_f32_e32 v39, v59, v147
	;; [unrolled: 1-line block ×11, first 2 shown]
	v_fma_f32 v158, v48, v68, -v29
	v_fma_f32 v68, v50, v70, -v31
	v_fmac_f32_e32 v69, v51, v70
	v_fma_f32 v70, v52, v140, -v33
	v_fmac_f32_e32 v71, v53, v140
	v_fma_f32 v140, v54, v142, -v35
	v_fmac_f32_e32 v141, v55, v142
	v_fma_f32 v142, v56, v144, -v37
	v_fmac_f32_e32 v143, v57, v144
	v_fma_f32 v48, v156, v40, -v78
	v_fmac_f32_e32 v49, v157, v40
	v_fma_f32 v144, v58, v146, -v39
	v_fmac_f32_e32 v145, v59, v146
	v_fma_f32 v146, v60, v148, -v74
	v_fmac_f32_e32 v147, v61, v148
	v_fma_f32 v148, v62, v154, -v75
	v_fmac_f32_e32 v149, v63, v154
	v_fma_f32 v154, v64, v150, -v76
	v_fmac_f32_e32 v155, v65, v150
	v_fma_f32 v150, v66, v152, -v77
	v_fmac_f32_e32 v151, v67, v152
	ds_write2_b64 v72, v[158:159], v[68:69] offset0:104 offset1:156
	ds_write2_b64 v73, v[70:71], v[140:141] offset0:80 offset1:132
	;; [unrolled: 1-line block ×5, first 2 shown]
	ds_write_b64 v72, v[48:49] offset:4992
	s_waitcnt lgkmcnt(0)
	; wave barrier
	s_waitcnt lgkmcnt(0)
	ds_read2_b64 v[54:57], v72 offset0:104 offset1:156
	ds_read2_b64 v[62:65], v73 offset0:80 offset1:132
	ds_read2_b64 v[48:51], v72 offset1:52
	ds_read2_b64 v[68:71], v168 offset0:56 offset1:108
	ds_read2_b64 v[140:143], v168 offset0:160 offset1:212
	;; [unrolled: 1-line block ×3, first 2 shown]
	ds_read_b64 v[40:41], v72 offset:4992
	s_waitcnt lgkmcnt(4)
	v_pk_add_f32 v[52:53], v[48:49], v[50:51]
	s_waitcnt lgkmcnt(3)
	v_pk_add_f32 v[190:191], v[68:69], v[70:71] neg_lo:[0,1] neg_hi:[0,1]
	v_pk_add_f32 v[52:53], v[52:53], v[54:55]
	s_waitcnt lgkmcnt(1)
	v_pk_add_f32 v[174:175], v[54:55], v[60:61] neg_lo:[0,1] neg_hi:[0,1]
	;; [unrolled: 3-line block ×3, first 2 shown]
	v_pk_add_f32 v[52:53], v[52:53], v[62:63]
	v_pk_add_f32 v[164:165], v[40:41], v[50:51]
	;; [unrolled: 1-line block ×3, first 2 shown]
	v_pk_mul_f32 v[50:51], v[170:171], s[42:43] op_sel_hi:[1,0]
	v_pk_add_f32 v[52:53], v[52:53], v[68:69]
	v_pk_add_f32 v[172:173], v[60:61], v[54:55]
	;; [unrolled: 1-line block ×3, first 2 shown]
	v_pk_mul_f32 v[54:55], v[174:175], s[22:23] op_sel_hi:[1,0]
	v_pk_add_f32 v[52:53], v[52:53], v[140:141]
	v_pk_add_f32 v[178:179], v[56:57], v[58:59] neg_lo:[0,1] neg_hi:[0,1]
	v_pk_add_f32 v[52:53], v[52:53], v[142:143]
	v_pk_add_f32 v[176:177], v[58:59], v[56:57]
	;; [unrolled: 1-line block ×3, first 2 shown]
	v_pk_mul_f32 v[58:59], v[178:179], s[28:29] op_sel_hi:[1,0]
	v_pk_add_f32 v[52:53], v[52:53], v[60:61]
	v_pk_fma_f32 v[56:57], v[176:177], s[8:9], v[58:59] op_sel:[0,0,1] op_sel_hi:[1,0,0]
	v_pk_add_f32 v[144:145], v[52:53], v[40:41]
	v_pk_fma_f32 v[40:41], v[164:165], s[0:1], v[50:51] op_sel:[0,0,1] op_sel_hi:[1,0,0]
	v_pk_fma_f32 v[50:51], v[164:165], s[0:1], v[50:51] op_sel:[0,0,1] op_sel_hi:[1,0,0] neg_lo:[0,0,1] neg_hi:[0,0,1]
	v_mov_b32_e32 v52, v40
	v_mov_b32_e32 v53, v51
	v_pk_add_f32 v[66:67], v[48:49], v[52:53]
	v_pk_fma_f32 v[52:53], v[172:173], s[10:11], v[54:55] op_sel:[0,0,1] op_sel_hi:[1,0,0]
	v_pk_fma_f32 v[54:55], v[172:173], s[10:11], v[54:55] op_sel:[0,0,1] op_sel_hi:[1,0,0] neg_lo:[0,0,1] neg_hi:[0,0,1]
	v_mov_b32_e32 v60, v52
	v_mov_b32_e32 v61, v55
	v_pk_fma_f32 v[58:59], v[176:177], s[8:9], v[58:59] op_sel:[0,0,1] op_sel_hi:[1,0,0] neg_lo:[0,0,1] neg_hi:[0,0,1]
	v_pk_add_f32 v[182:183], v[62:63], v[142:143] neg_lo:[0,1] neg_hi:[0,1]
	v_pk_add_f32 v[60:61], v[60:61], v[66:67]
	v_mov_b32_e32 v66, v56
	v_mov_b32_e32 v67, v59
	v_pk_add_f32 v[180:181], v[142:143], v[62:63]
	v_pk_mul_f32 v[62:63], v[182:183], s[18:19] op_sel_hi:[1,0]
	v_pk_add_f32 v[66:67], v[66:67], v[60:61]
	v_pk_fma_f32 v[60:61], v[180:181], s[14:15], v[62:63] op_sel:[0,0,1] op_sel_hi:[1,0,0]
	v_pk_fma_f32 v[62:63], v[180:181], s[14:15], v[62:63] op_sel:[0,0,1] op_sel_hi:[1,0,0] neg_lo:[0,0,1] neg_hi:[0,0,1]
	v_mov_b32_e32 v142, v60
	v_mov_b32_e32 v143, v63
	v_pk_add_f32 v[186:187], v[64:65], v[140:141] neg_lo:[0,1] neg_hi:[0,1]
	v_pk_add_f32 v[142:143], v[142:143], v[66:67]
	v_pk_add_f32 v[184:185], v[140:141], v[64:65]
	v_pk_mul_f32 v[66:67], v[186:187], s[20:21] op_sel_hi:[1,0]
	v_pk_add_f32 v[188:189], v[70:71], v[68:69]
	v_pk_fma_f32 v[64:65], v[184:185], s[12:13], v[66:67] op_sel:[0,0,1] op_sel_hi:[1,0,0]
	v_pk_fma_f32 v[66:67], v[184:185], s[12:13], v[66:67] op_sel:[0,0,1] op_sel_hi:[1,0,0] neg_lo:[0,0,1] neg_hi:[0,0,1]
	v_pk_mul_f32 v[70:71], v[190:191], s[24:25] op_sel_hi:[1,0]
	v_mov_b32_e32 v140, v64
	v_mov_b32_e32 v141, v67
	v_pk_fma_f32 v[68:69], v[188:189], s[16:17], v[70:71] op_sel:[0,0,1] op_sel_hi:[1,0,0]
	v_pk_fma_f32 v[70:71], v[188:189], s[16:17], v[70:71] op_sel:[0,0,1] op_sel_hi:[1,0,0] neg_lo:[0,0,1] neg_hi:[0,0,1]
	v_pk_add_f32 v[140:141], v[140:141], v[142:143]
	v_mov_b32_e32 v142, v68
	v_mov_b32_e32 v143, v71
	v_pk_add_f32 v[140:141], v[142:143], v[140:141]
	v_pk_mul_f32 v[142:143], v[170:171], s[22:23] op_sel_hi:[1,0]
	s_waitcnt lgkmcnt(0)
	; wave barrier
	ds_write2_b64 v87, v[144:145], v[140:141] offset1:1
	v_pk_fma_f32 v[140:141], v[164:165], s[10:11], v[142:143] op_sel:[0,0,1] op_sel_hi:[1,0,0]
	v_pk_fma_f32 v[142:143], v[164:165], s[10:11], v[142:143] op_sel:[0,0,1] op_sel_hi:[1,0,0] neg_lo:[0,0,1] neg_hi:[0,0,1]
	v_mov_b32_e32 v144, v140
	v_mov_b32_e32 v145, v143
	v_pk_mul_f32 v[146:147], v[174:175], s[18:19] op_sel_hi:[1,0]
	v_pk_add_f32 v[148:149], v[48:49], v[144:145]
	v_pk_fma_f32 v[144:145], v[172:173], s[14:15], v[146:147] op_sel:[0,0,1] op_sel_hi:[1,0,0]
	v_pk_fma_f32 v[146:147], v[172:173], s[14:15], v[146:147] op_sel:[0,0,1] op_sel_hi:[1,0,0] neg_lo:[0,0,1] neg_hi:[0,0,1]
	v_mov_b32_e32 v150, v144
	v_mov_b32_e32 v151, v147
	v_pk_add_f32 v[152:153], v[150:151], v[148:149]
	v_pk_mul_f32 v[150:151], v[178:179], s[24:25] op_sel_hi:[1,0]
	v_pk_mul_f32 v[200:201], v[174:175], s[24:25] op_sel_hi:[1,0]
	v_pk_fma_f32 v[148:149], v[176:177], s[16:17], v[150:151] op_sel:[0,0,1] op_sel_hi:[1,0,0]
	v_pk_fma_f32 v[150:151], v[176:177], s[16:17], v[150:151] op_sel:[0,0,1] op_sel_hi:[1,0,0] neg_lo:[0,0,1] neg_hi:[0,0,1]
	v_mov_b32_e32 v154, v148
	v_mov_b32_e32 v155, v151
	v_pk_add_f32 v[156:157], v[154:155], v[152:153]
	v_pk_mul_f32 v[154:155], v[182:183], s[34:35] op_sel_hi:[1,0]
	v_pk_fma_f32 v[202:203], v[172:173], s[16:17], v[200:201] op_sel:[0,0,1] op_sel_hi:[1,0,0]
	v_pk_fma_f32 v[152:153], v[180:181], s[12:13], v[154:155] op_sel:[0,0,1] op_sel_hi:[1,0,0]
	v_pk_fma_f32 v[154:155], v[180:181], s[12:13], v[154:155] op_sel:[0,0,1] op_sel_hi:[1,0,0] neg_lo:[0,0,1] neg_hi:[0,0,1]
	v_mov_b32_e32 v158, v152
	v_mov_b32_e32 v159, v155
	v_pk_add_f32 v[160:161], v[158:159], v[156:157]
	v_pk_mul_f32 v[158:159], v[186:187], s[26:27] op_sel_hi:[1,0]
	v_pk_fma_f32 v[200:201], v[172:173], s[16:17], v[200:201] op_sel:[0,0,1] op_sel_hi:[1,0,0] neg_lo:[0,0,1] neg_hi:[0,0,1]
	v_pk_fma_f32 v[156:157], v[184:185], s[8:9], v[158:159] op_sel:[0,0,1] op_sel_hi:[1,0,0]
	v_pk_fma_f32 v[158:159], v[184:185], s[8:9], v[158:159] op_sel:[0,0,1] op_sel_hi:[1,0,0] neg_lo:[0,0,1] neg_hi:[0,0,1]
	v_mov_b32_e32 v162, v156
	v_mov_b32_e32 v163, v159
	v_pk_add_f32 v[192:193], v[162:163], v[160:161]
	v_pk_mul_f32 v[162:163], v[190:191], s[30:31] op_sel_hi:[1,0]
	v_mov_b32_e32 v204, v202
	v_pk_fma_f32 v[160:161], v[188:189], s[0:1], v[162:163] op_sel:[0,0,1] op_sel_hi:[1,0,0]
	v_pk_fma_f32 v[162:163], v[188:189], s[0:1], v[162:163] op_sel:[0,0,1] op_sel_hi:[1,0,0] neg_lo:[0,0,1] neg_hi:[0,0,1]
	v_mov_b32_e32 v194, v160
	v_mov_b32_e32 v195, v163
	v_pk_add_f32 v[192:193], v[194:195], v[192:193]
	v_pk_mul_f32 v[194:195], v[170:171], s[28:29] op_sel_hi:[1,0]
	v_mov_b32_e32 v205, v201
	v_pk_fma_f32 v[196:197], v[164:165], s[8:9], v[194:195] op_sel:[0,0,1] op_sel_hi:[1,0,0]
	v_pk_fma_f32 v[194:195], v[164:165], s[8:9], v[194:195] op_sel:[0,0,1] op_sel_hi:[1,0,0] neg_lo:[0,0,1] neg_hi:[0,0,1]
	v_mov_b32_e32 v198, v196
	v_mov_b32_e32 v199, v195
	v_pk_add_f32 v[198:199], v[48:49], v[198:199]
	v_pk_mul_f32 v[222:223], v[174:175], s[34:35] op_sel_hi:[1,0]
	v_pk_add_f32 v[198:199], v[204:205], v[198:199]
	v_pk_mul_f32 v[204:205], v[178:179], s[40:41] op_sel_hi:[1,0]
	v_pk_fma_f32 v[224:225], v[172:173], s[12:13], v[222:223] op_sel:[0,0,1] op_sel_hi:[1,0,0]
	v_pk_fma_f32 v[206:207], v[176:177], s[14:15], v[204:205] op_sel:[0,0,1] op_sel_hi:[1,0,0]
	v_pk_fma_f32 v[204:205], v[176:177], s[14:15], v[204:205] op_sel:[0,0,1] op_sel_hi:[1,0,0] neg_lo:[0,0,1] neg_hi:[0,0,1]
	v_mov_b32_e32 v208, v206
	v_mov_b32_e32 v209, v205
	v_pk_add_f32 v[198:199], v[208:209], v[198:199]
	v_pk_mul_f32 v[208:209], v[182:183], s[30:31] op_sel_hi:[1,0]
	v_pk_fma_f32 v[222:223], v[172:173], s[12:13], v[222:223] op_sel:[0,0,1] op_sel_hi:[1,0,0] neg_lo:[0,0,1] neg_hi:[0,0,1]
	v_pk_fma_f32 v[210:211], v[180:181], s[0:1], v[208:209] op_sel:[0,0,1] op_sel_hi:[1,0,0]
	v_pk_fma_f32 v[208:209], v[180:181], s[0:1], v[208:209] op_sel:[0,0,1] op_sel_hi:[1,0,0] neg_lo:[0,0,1] neg_hi:[0,0,1]
	v_mov_b32_e32 v212, v210
	v_mov_b32_e32 v213, v209
	v_pk_add_f32 v[198:199], v[212:213], v[198:199]
	v_pk_mul_f32 v[212:213], v[186:187], s[22:23] op_sel_hi:[1,0]
	v_mov_b32_e32 v226, v224
	v_pk_fma_f32 v[214:215], v[184:185], s[10:11], v[212:213] op_sel:[0,0,1] op_sel_hi:[1,0,0]
	v_pk_fma_f32 v[212:213], v[184:185], s[10:11], v[212:213] op_sel:[0,0,1] op_sel_hi:[1,0,0] neg_lo:[0,0,1] neg_hi:[0,0,1]
	v_mov_b32_e32 v216, v214
	v_mov_b32_e32 v217, v213
	v_pk_add_f32 v[198:199], v[216:217], v[198:199]
	v_pk_mul_f32 v[216:217], v[190:191], s[20:21] op_sel_hi:[1,0]
	v_mov_b32_e32 v227, v223
	v_pk_fma_f32 v[218:219], v[188:189], s[12:13], v[216:217] op_sel:[0,0,1] op_sel_hi:[1,0,0]
	v_pk_fma_f32 v[216:217], v[188:189], s[12:13], v[216:217] op_sel:[0,0,1] op_sel_hi:[1,0,0] neg_lo:[0,0,1] neg_hi:[0,0,1]
	v_mov_b32_e32 v220, v218
	v_mov_b32_e32 v221, v217
	v_pk_add_f32 v[198:199], v[220:221], v[198:199]
	ds_write2_b64 v87, v[192:193], v[198:199] offset0:2 offset1:3
	v_pk_mul_f32 v[192:193], v[170:171], s[18:19] op_sel_hi:[1,0]
	v_pk_mul_f32 v[248:249], v[174:175], s[26:27] op_sel_hi:[1,0]
	v_pk_fma_f32 v[198:199], v[164:165], s[14:15], v[192:193] op_sel:[0,0,1] op_sel_hi:[1,0,0]
	v_pk_fma_f32 v[192:193], v[164:165], s[14:15], v[192:193] op_sel:[0,0,1] op_sel_hi:[1,0,0] neg_lo:[0,0,1] neg_hi:[0,0,1]
	v_mov_b32_e32 v220, v198
	v_mov_b32_e32 v221, v193
	v_pk_add_f32 v[220:221], v[48:49], v[220:221]
	v_pk_fma_f32 v[250:251], v[172:173], s[8:9], v[248:249] op_sel:[0,0,1] op_sel_hi:[1,0,0]
	v_pk_add_f32 v[220:221], v[226:227], v[220:221]
	v_pk_mul_f32 v[226:227], v[178:179], s[30:31] op_sel_hi:[1,0]
	v_pk_fma_f32 v[248:249], v[172:173], s[8:9], v[248:249] op_sel:[0,0,1] op_sel_hi:[1,0,0] neg_lo:[0,0,1] neg_hi:[0,0,1]
	v_pk_fma_f32 v[228:229], v[176:177], s[0:1], v[226:227] op_sel:[0,0,1] op_sel_hi:[1,0,0]
	v_pk_fma_f32 v[226:227], v[176:177], s[0:1], v[226:227] op_sel:[0,0,1] op_sel_hi:[1,0,0] neg_lo:[0,0,1] neg_hi:[0,0,1]
	v_mov_b32_e32 v230, v228
	v_mov_b32_e32 v231, v227
	v_pk_add_f32 v[220:221], v[230:231], v[220:221]
	v_pk_mul_f32 v[230:231], v[182:183], s[28:29] op_sel_hi:[1,0]
	v_mov_b32_e32 v252, v250
	v_pk_fma_f32 v[232:233], v[180:181], s[8:9], v[230:231] op_sel:[0,0,1] op_sel_hi:[1,0,0]
	v_pk_fma_f32 v[230:231], v[180:181], s[8:9], v[230:231] op_sel:[0,0,1] op_sel_hi:[1,0,0] neg_lo:[0,0,1] neg_hi:[0,0,1]
	v_mov_b32_e32 v234, v232
	v_mov_b32_e32 v235, v231
	v_pk_add_f32 v[220:221], v[234:235], v[220:221]
	v_pk_mul_f32 v[234:235], v[186:187], s[38:39] op_sel_hi:[1,0]
	v_mov_b32_e32 v253, v249
	;; [unrolled: 7-line block ×4, first 2 shown]
	v_pk_fma_f32 v[244:245], v[164:165], s[12:13], v[242:243] op_sel:[0,0,1] op_sel_hi:[1,0,0]
	v_pk_fma_f32 v[242:243], v[164:165], s[12:13], v[242:243] op_sel:[0,0,1] op_sel_hi:[1,0,0] neg_lo:[0,0,1] neg_hi:[0,0,1]
	v_mov_b32_e32 v246, v244
	v_mov_b32_e32 v247, v243
	v_pk_add_f32 v[246:247], v[48:49], v[246:247]
	v_mov_b32_e32 v243, v245
	v_pk_add_f32 v[246:247], v[252:253], v[246:247]
	v_pk_mul_f32 v[252:253], v[178:179], s[22:23] op_sel_hi:[1,0]
	v_mov_b32_e32 v223, v225
	v_pk_fma_f32 v[74:75], v[176:177], s[10:11], v[252:253] op_sel:[0,0,1] op_sel_hi:[1,0,0]
	v_pk_fma_f32 v[252:253], v[176:177], s[10:11], v[252:253] op_sel:[0,0,1] op_sel_hi:[1,0,0] neg_lo:[0,0,1] neg_hi:[0,0,1]
	v_mov_b32_e32 v254, v74
	v_mov_b32_e32 v255, v253
	v_pk_add_f32 v[246:247], v[254:255], v[246:247]
	v_pk_mul_f32 v[254:255], v[182:183], s[38:39] op_sel_hi:[1,0]
	v_mov_b32_e32 v253, v75
	v_pk_fma_f32 v[78:79], v[180:181], s[16:17], v[254:255] op_sel:[0,0,1] op_sel_hi:[1,0,0]
	v_pk_fma_f32 v[254:255], v[180:181], s[16:17], v[254:255] op_sel:[0,0,1] op_sel_hi:[1,0,0] neg_lo:[0,0,1] neg_hi:[0,0,1]
	v_mov_b32_e32 v76, v78
	v_mov_b32_e32 v77, v255
	v_pk_add_f32 v[76:77], v[76:77], v[246:247]
	v_pk_mul_f32 v[246:247], v[186:187], s[30:31] op_sel_hi:[1,0]
	v_mov_b32_e32 v227, v229
	v_pk_fma_f32 v[82:83], v[184:185], s[0:1], v[246:247] op_sel:[0,0,1] op_sel_hi:[1,0,0]
	v_pk_fma_f32 v[246:247], v[184:185], s[0:1], v[246:247] op_sel:[0,0,1] op_sel_hi:[1,0,0] neg_lo:[0,0,1] neg_hi:[0,0,1]
	v_mov_b32_e32 v80, v82
	v_mov_b32_e32 v81, v247
	v_pk_add_f32 v[76:77], v[80:81], v[76:77]
	v_pk_mul_f32 v[80:81], v[190:191], s[18:19] op_sel_hi:[1,0]
	v_mov_b32_e32 v255, v79
	v_pk_fma_f32 v[88:89], v[188:189], s[14:15], v[80:81] op_sel:[0,0,1] op_sel_hi:[1,0,0]
	v_pk_fma_f32 v[80:81], v[188:189], s[14:15], v[80:81] op_sel:[0,0,1] op_sel_hi:[1,0,0] neg_lo:[0,0,1] neg_hi:[0,0,1]
	v_mov_b32_e32 v84, v88
	v_mov_b32_e32 v85, v81
	v_pk_add_f32 v[76:77], v[84:85], v[76:77]
	ds_write2_b64 v87, v[220:221], v[76:77] offset0:4 offset1:5
	v_pk_mul_f32 v[76:77], v[170:171], s[24:25] op_sel_hi:[1,0]
	v_mov_b32_e32 v231, v233
	v_pk_fma_f32 v[84:85], v[164:165], s[16:17], v[76:77] op_sel:[0,0,1] op_sel_hi:[1,0,0]
	v_pk_fma_f32 v[76:77], v[164:165], s[16:17], v[76:77] op_sel:[0,0,1] op_sel_hi:[1,0,0] neg_lo:[0,0,1] neg_hi:[0,0,1]
	v_pk_mul_f32 v[164:165], v[174:175], s[30:31] op_sel_hi:[1,0]
	v_mov_b32_e32 v247, v83
	v_pk_fma_f32 v[170:171], v[172:173], s[0:1], v[164:165] op_sel:[0,0,1] op_sel_hi:[1,0,0]
	v_pk_fma_f32 v[164:165], v[172:173], s[0:1], v[164:165] op_sel:[0,0,1] op_sel_hi:[1,0,0] neg_lo:[0,0,1] neg_hi:[0,0,1]
	v_mov_b32_e32 v172, v84
	v_mov_b32_e32 v173, v77
	v_pk_add_f32 v[172:173], v[48:49], v[172:173]
	v_mov_b32_e32 v174, v170
	v_mov_b32_e32 v175, v165
	v_pk_add_f32 v[172:173], v[174:175], v[172:173]
	v_pk_mul_f32 v[174:175], v[178:179], s[20:21] op_sel_hi:[1,0]
	v_mov_b32_e32 v77, v85
	v_pk_fma_f32 v[178:179], v[176:177], s[12:13], v[174:175] op_sel:[0,0,1] op_sel_hi:[1,0,0]
	v_pk_fma_f32 v[174:175], v[176:177], s[12:13], v[174:175] op_sel:[0,0,1] op_sel_hi:[1,0,0] neg_lo:[0,0,1] neg_hi:[0,0,1]
	v_mov_b32_e32 v176, v178
	v_mov_b32_e32 v177, v175
	v_pk_add_f32 v[172:173], v[176:177], v[172:173]
	v_pk_mul_f32 v[176:177], v[182:183], s[36:37] op_sel_hi:[1,0]
	v_mov_b32_e32 v165, v171
	v_pk_fma_f32 v[182:183], v[180:181], s[10:11], v[176:177] op_sel:[0,0,1] op_sel_hi:[1,0,0]
	v_pk_fma_f32 v[176:177], v[180:181], s[10:11], v[176:177] op_sel:[0,0,1] op_sel_hi:[1,0,0] neg_lo:[0,0,1] neg_hi:[0,0,1]
	v_mov_b32_e32 v180, v182
	v_mov_b32_e32 v181, v177
	v_pk_add_f32 v[172:173], v[180:181], v[172:173]
	v_pk_mul_f32 v[180:181], v[186:187], s[18:19] op_sel_hi:[1,0]
	v_pk_add_f32 v[76:77], v[48:49], v[76:77]
	v_pk_fma_f32 v[186:187], v[184:185], s[14:15], v[180:181] op_sel:[0,0,1] op_sel_hi:[1,0,0]
	v_pk_fma_f32 v[180:181], v[184:185], s[14:15], v[180:181] op_sel:[0,0,1] op_sel_hi:[1,0,0] neg_lo:[0,0,1] neg_hi:[0,0,1]
	v_mov_b32_e32 v184, v186
	v_mov_b32_e32 v185, v181
	v_pk_add_f32 v[76:77], v[164:165], v[76:77]
	v_mov_b32_e32 v175, v179
	v_pk_add_f32 v[172:173], v[184:185], v[172:173]
	v_pk_mul_f32 v[184:185], v[190:191], s[26:27] op_sel_hi:[1,0]
	v_pk_add_f32 v[76:77], v[174:175], v[76:77]
	v_mov_b32_e32 v177, v183
	v_pk_fma_f32 v[190:191], v[188:189], s[8:9], v[184:185] op_sel:[0,0,1] op_sel_hi:[1,0,0]
	v_pk_fma_f32 v[184:185], v[188:189], s[8:9], v[184:185] op_sel:[0,0,1] op_sel_hi:[1,0,0] neg_lo:[0,0,1] neg_hi:[0,0,1]
	v_pk_add_f32 v[76:77], v[176:177], v[76:77]
	v_mov_b32_e32 v181, v187
	v_mov_b32_e32 v188, v190
	;; [unrolled: 1-line block ×3, first 2 shown]
	v_pk_add_f32 v[76:77], v[180:181], v[76:77]
	v_mov_b32_e32 v185, v191
	v_pk_add_f32 v[172:173], v[188:189], v[172:173]
	v_pk_add_f32 v[76:77], v[184:185], v[76:77]
	ds_write2_b64 v87, v[172:173], v[76:77] offset0:6 offset1:7
	v_pk_add_f32 v[76:77], v[48:49], v[242:243]
	v_mov_b32_e32 v235, v237
	v_pk_add_f32 v[76:77], v[248:249], v[76:77]
	v_mov_b32_e32 v81, v89
	v_pk_add_f32 v[74:75], v[252:253], v[76:77]
	v_pk_add_f32 v[76:77], v[48:49], v[192:193]
	;; [unrolled: 1-line block ×6, first 2 shown]
	v_mov_b32_e32 v239, v241
	v_pk_add_f32 v[76:77], v[230:231], v[76:77]
	v_pk_add_f32 v[74:75], v[80:81], v[74:75]
	;; [unrolled: 1-line block ×3, first 2 shown]
	v_mov_b32_e32 v195, v197
	v_pk_add_f32 v[76:77], v[238:239], v[76:77]
	v_mov_b32_e32 v143, v141
	v_mov_b32_e32 v51, v41
	ds_write2_b64 v87, v[74:75], v[76:77] offset0:8 offset1:9
	v_pk_add_f32 v[74:75], v[48:49], v[194:195]
	v_mov_b32_e32 v201, v203
	v_pk_add_f32 v[76:77], v[48:49], v[142:143]
	v_mov_b32_e32 v147, v145
	;; [unrolled: 2-line block ×15, first 2 shown]
	v_pk_add_f32 v[74:75], v[216:217], v[74:75]
	v_pk_add_f32 v[76:77], v[162:163], v[76:77]
	;; [unrolled: 1-line block ×3, first 2 shown]
	ds_write2_b64 v87, v[74:75], v[76:77] offset0:10 offset1:11
	ds_write_b64 v87, v[40:41] offset:96
	s_waitcnt lgkmcnt(0)
	; wave barrier
	s_waitcnt lgkmcnt(0)
	ds_read2_b64 v[48:51], v72 offset1:52
	ds_read2_b64 v[52:55], v73 offset0:80 offset1:132
	ds_read2_b64 v[56:59], v168 offset0:56 offset1:108
	;; [unrolled: 1-line block ×4, first 2 shown]
	ds_read_b64 v[40:41], v72 offset:4992
	s_waitcnt lgkmcnt(4)
	v_pk_mul_f32 v[68:69], v[108:109], v[52:53]
	s_mov_b32 s13, s20
	v_pk_fma_f32 v[74:75], v[2:3], v[52:53], v[68:69] op_sel:[0,0,1] op_sel_hi:[1,1,0]
	v_pk_fma_f32 v[2:3], v[2:3], v[52:53], v[68:69] op_sel:[0,0,1] op_sel_hi:[1,1,0] neg_lo:[0,0,1] neg_hi:[0,0,1]
	s_mov_b32 s21, s12
	v_mov_b32_e32 v75, v3
	v_pk_mul_f32 v[2:3], v[138:139], v[54:55]
	s_mov_b32 s17, s24
	v_pk_fma_f32 v[52:53], v[8:9], v[54:55], v[2:3] op_sel:[0,0,1] op_sel_hi:[1,1,0]
	v_pk_fma_f32 v[8:9], v[8:9], v[54:55], v[2:3] op_sel:[0,0,1] op_sel_hi:[1,1,0] neg_lo:[0,0,1] neg_hi:[0,0,1]
	s_waitcnt lgkmcnt(3)
	v_pk_mul_f32 v[2:3], v[106:107], v[56:57]
	v_mov_b32_e32 v55, v9
	v_pk_fma_f32 v[68:69], v[10:11], v[56:57], v[2:3] op_sel:[0,0,1] op_sel_hi:[1,1,0]
	v_pk_fma_f32 v[10:11], v[10:11], v[56:57], v[2:3] op_sel:[0,0,1] op_sel_hi:[1,1,0] neg_lo:[0,0,1] neg_hi:[0,0,1]
	v_pk_mul_f32 v[2:3], v[136:137], v[58:59]
	v_mov_b32_e32 v77, v11
	v_pk_fma_f32 v[56:57], v[12:13], v[58:59], v[2:3] op_sel:[0,0,1] op_sel_hi:[1,1,0]
	v_pk_fma_f32 v[12:13], v[12:13], v[58:59], v[2:3] op_sel:[0,0,1] op_sel_hi:[1,1,0] neg_lo:[0,0,1] neg_hi:[0,0,1]
	s_waitcnt lgkmcnt(2)
	v_pk_mul_f32 v[2:3], v[104:105], v[60:61]
	v_mov_b32_e32 v78, v56
	v_pk_fma_f32 v[58:59], v[14:15], v[60:61], v[2:3] op_sel:[0,0,1] op_sel_hi:[1,1,0]
	v_pk_fma_f32 v[14:15], v[14:15], v[60:61], v[2:3] op_sel:[0,0,1] op_sel_hi:[1,1,0] neg_lo:[0,0,1] neg_hi:[0,0,1]
	v_pk_mul_f32 v[2:3], v[134:135], v[62:63]
	v_mov_b32_e32 v61, v15
	v_pk_fma_f32 v[80:81], v[16:17], v[62:63], v[2:3] op_sel:[0,0,1] op_sel_hi:[1,1,0]
	v_pk_fma_f32 v[2:3], v[16:17], v[62:63], v[2:3] op_sel:[0,0,1] op_sel_hi:[1,1,0] neg_lo:[0,0,1] neg_hi:[0,0,1]
	v_pk_add_f32 v[16:17], v[52:53], v[58:59] neg_lo:[0,1] neg_hi:[0,1]
	v_mov_b32_e32 v81, v3
	s_waitcnt lgkmcnt(1)
	v_pk_mul_f32 v[2:3], v[102:103], v[64:65]
	v_mov_b32_e32 v79, v13
	v_pk_fma_f32 v[82:83], v[18:19], v[64:65], v[2:3] op_sel:[0,0,1] op_sel_hi:[1,1,0]
	v_pk_fma_f32 v[2:3], v[18:19], v[64:65], v[2:3] op_sel:[0,0,1] op_sel_hi:[1,1,0] neg_lo:[0,0,1] neg_hi:[0,0,1]
	s_mov_b32 s25, s16
	v_mov_b32_e32 v83, v3
	v_pk_mul_f32 v[2:3], v[132:133], v[66:67]
	v_mov_b32_e32 v76, v68
	v_pk_fma_f32 v[64:65], v[20:21], v[66:67], v[2:3] op_sel:[0,0,1] op_sel_hi:[1,1,0]
	v_pk_fma_f32 v[2:3], v[20:21], v[66:67], v[2:3] op_sel:[0,0,1] op_sel_hi:[1,1,0] neg_lo:[0,0,1] neg_hi:[0,0,1]
	v_pk_add_f32 v[20:21], v[8:9], v[14:15]
	v_mov_b32_e32 v65, v3
	s_waitcnt lgkmcnt(0)
	v_pk_mul_f32 v[2:3], v[110:111], v[40:41]
	v_mov_b32_e32 v60, v58
	v_pk_fma_f32 v[84:85], v[22:23], v[40:41], v[2:3] op_sel:[0,0,1] op_sel_hi:[1,1,0]
	v_pk_fma_f32 v[2:3], v[22:23], v[40:41], v[2:3] op_sel:[0,0,1] op_sel_hi:[1,1,0] neg_lo:[0,0,1] neg_hi:[0,0,1]
	v_mov_b32_e32 v54, v52
	v_mov_b32_e32 v85, v3
	v_pk_add_f32 v[2:3], v[52:53], v[58:59]
	s_mov_b32 s19, s14
	v_mov_b32_e32 v3, v16
	v_pk_add_f32 v[16:17], v[8:9], v[14:15] neg_lo:[0,1] neg_hi:[0,1]
	v_pk_mul_f32 v[14:15], v[2:3], s[12:13]
	v_mov_b32_e32 v20, v17
	v_pk_fma_f32 v[40:41], v[16:17], s[20:21], v[14:15] op_sel:[1,0,0] neg_lo:[1,0,0] neg_hi:[1,0,0]
	v_pk_add_f32 v[8:9], v[68:69], v[56:57]
	v_pk_add_f32 v[16:17], v[68:69], v[56:57] neg_lo:[0,1] neg_hi:[0,1]
	v_pk_add_f32 v[56:57], v[10:11], v[12:13]
	v_mov_b32_e32 v9, v16
	v_pk_add_f32 v[16:17], v[10:11], v[12:13] neg_lo:[0,1] neg_hi:[0,1]
	ds_read2_b64 v[10:13], v72 offset0:104 offset1:156
	v_pk_mul_f32 v[18:19], v[8:9], s[16:17]
	v_mov_b32_e32 v56, v17
	v_pk_fma_f32 v[68:69], v[16:17], s[24:25], v[18:19] op_sel:[1,0,0] neg_lo:[1,0,0] neg_hi:[1,0,0]
	v_pk_mul_f32 v[16:17], v[4:5], v[50:51] op_sel:[1,0]
	v_pk_fma_f32 v[88:89], v[20:21], s[20:21], v[14:15]
	v_pk_fma_f32 v[22:23], v[4:5], v[50:51], v[16:17] op_sel:[0,0,1] op_sel_hi:[1,1,0]
	v_pk_fma_f32 v[4:5], v[4:5], v[50:51], v[16:17] op_sel:[0,0,1] op_sel_hi:[0,1,0] neg_lo:[0,0,1] neg_hi:[0,0,1]
	v_mov_b32_e32 v23, v5
	s_waitcnt lgkmcnt(0)
	v_pk_mul_f32 v[4:5], v[6:7], v[10:11] op_sel:[1,0]
	v_pk_add_f32 v[66:67], v[22:23], v[84:85] neg_lo:[0,1] neg_hi:[0,1]
	v_pk_fma_f32 v[16:17], v[6:7], v[10:11], v[4:5] op_sel:[0,0,1] op_sel_hi:[1,1,0]
	v_pk_fma_f32 v[4:5], v[6:7], v[10:11], v[4:5] op_sel:[0,0,1] op_sel_hi:[0,1,0] neg_lo:[0,0,1] neg_hi:[0,0,1]
	v_mov_b32_e32 v17, v5
	v_pk_add_f32 v[4:5], v[48:49], v[22:23]
	v_pk_add_f32 v[58:59], v[22:23], v[84:85]
	;; [unrolled: 1-line block ×3, first 2 shown]
	v_pk_mul_f32 v[4:5], v[66:67], s[42:43] op_sel_hi:[1,0]
	v_pk_add_f32 v[70:71], v[16:17], v[64:65] neg_lo:[0,1] neg_hi:[0,1]
	v_pk_fma_f32 v[6:7], v[58:59], s[0:1], v[4:5] op_sel:[0,0,1] op_sel_hi:[1,0,0]
	v_pk_fma_f32 v[4:5], v[58:59], s[0:1], v[4:5] op_sel:[0,0,1] op_sel_hi:[1,0,0] neg_lo:[0,0,1] neg_hi:[0,0,1]
	v_pk_add_f32 v[62:63], v[16:17], v[64:65]
	v_pk_mul_f32 v[16:17], v[70:71], s[22:23] op_sel_hi:[1,0]
	v_mov_b32_e32 v11, v5
	v_pk_fma_f32 v[22:23], v[62:63], s[10:11], v[16:17] op_sel:[0,0,1] op_sel_hi:[1,0,0]
	v_pk_fma_f32 v[16:17], v[62:63], s[10:11], v[16:17] op_sel:[0,0,1] op_sel_hi:[1,0,0] neg_lo:[0,0,1] neg_hi:[0,0,1]
	v_mov_b32_e32 v5, v7
	v_mov_b32_e32 v53, v17
	v_pk_add_f32 v[4:5], v[48:49], v[4:5]
	v_mov_b32_e32 v17, v23
	v_pk_add_f32 v[106:107], v[16:17], v[4:5]
	v_pk_fma_f32 v[4:5], v[20:21], s[20:21], v[14:15] neg_lo:[0,0,1] neg_hi:[0,0,1]
	v_mov_b32_e32 v41, v89
	v_pk_fma_f32 v[102:103], v[56:57], s[24:25], v[18:19]
	v_mov_b32_e32 v89, v5
	v_pk_fma_f32 v[4:5], v[56:57], s[24:25], v[18:19] neg_lo:[0,0,1] neg_hi:[0,0,1]
	v_mov_b32_e32 v69, v103
	v_mov_b32_e32 v103, v5
	v_pk_mul_f32 v[4:5], v[0:1], v[12:13] op_sel:[1,0]
	v_mov_b32_e32 v52, v22
	v_pk_fma_f32 v[22:23], v[0:1], v[12:13], v[4:5] op_sel:[0,0,1] op_sel_hi:[1,1,0]
	v_pk_fma_f32 v[0:1], v[0:1], v[12:13], v[4:5] op_sel:[0,0,1] op_sel_hi:[0,1,0] neg_lo:[0,0,1] neg_hi:[0,0,1]
	v_mov_b32_e32 v23, v1
	v_pk_add_f32 v[140:141], v[22:23], v[82:83]
	v_pk_add_f32 v[144:145], v[22:23], v[82:83] neg_lo:[0,1] neg_hi:[0,1]
	v_pk_add_f32 v[22:23], v[50:51], v[22:23]
	v_mov_b32_e32 v10, v6
	v_pk_add_f32 v[22:23], v[22:23], v[74:75]
	v_pk_mul_f32 v[50:51], v[66:67], s[22:23] op_sel_hi:[1,0]
	v_pk_add_f32 v[22:23], v[22:23], v[54:55]
	v_pk_add_f32 v[10:11], v[48:49], v[10:11]
	;; [unrolled: 1-line block ×5, first 2 shown]
	s_mov_b32 s15, s18
	v_pk_add_f32 v[22:23], v[22:23], v[60:61]
	v_pk_mul_f32 v[54:55], v[70:71], s[18:19] op_sel_hi:[1,0]
	v_pk_add_f32 v[22:23], v[22:23], v[80:81]
	v_mov_b32_e32 v12, v140
	v_pk_add_f32 v[22:23], v[22:23], v[82:83]
	v_mov_b32_e32 v13, v144
	v_pk_add_f32 v[22:23], v[22:23], v[64:65]
	s_mov_b32 s9, s28
	v_pk_add_f32 v[60:61], v[22:23], v[84:85]
	v_pk_fma_f32 v[22:23], v[58:59], s[10:11], v[50:51] op_sel:[0,0,1] op_sel_hi:[1,0,0]
	v_pk_fma_f32 v[50:51], v[58:59], s[10:11], v[50:51] op_sel:[0,0,1] op_sel_hi:[1,0,0] neg_lo:[0,0,1] neg_hi:[0,0,1]
	v_mov_b32_e32 v52, v22
	v_mov_b32_e32 v53, v51
	v_pk_add_f32 v[64:65], v[48:49], v[52:53]
	v_pk_fma_f32 v[52:53], v[62:63], s[14:15], v[54:55] op_sel:[0,0,1] op_sel_hi:[1,0,0]
	v_pk_fma_f32 v[54:55], v[62:63], s[14:15], v[54:55] op_sel:[0,0,1] op_sel_hi:[1,0,0] neg_lo:[0,0,1] neg_hi:[0,0,1]
	v_pk_mul_f32 v[0:1], v[144:145], s[24:25] op_sel_hi:[1,0]
	v_pk_add_f32 v[142:143], v[74:75], v[80:81]
	v_pk_add_f32 v[146:147], v[74:75], v[80:81] neg_lo:[0,1] neg_hi:[0,1]
	v_mov_b32_e32 v132, v145
	v_mov_b32_e32 v133, v141
	s_mov_b32 s29, s8
	v_pk_mul_f32 v[134:135], v[12:13], s[8:9]
	v_mov_b32_e32 v74, v52
	v_mov_b32_e32 v75, v55
	v_pk_fma_f32 v[6:7], v[140:141], s[16:17], v[0:1] op_sel:[0,0,1] op_sel_hi:[1,0,0]
	v_pk_fma_f32 v[0:1], v[140:141], s[16:17], v[0:1] op_sel:[0,0,1] op_sel_hi:[1,0,0] neg_lo:[0,0,1] neg_hi:[0,0,1]
	v_pk_mul_f32 v[4:5], v[146:147], s[34:35] op_sel_hi:[1,0]
	v_pk_fma_f32 v[136:137], v[132:133], s[28:29], v[134:135] neg_lo:[1,0,0] neg_hi:[1,0,0]
	v_pk_fma_f32 v[138:139], v[132:133], s[28:29], v[134:135]
	v_mov_b32_e32 v12, v142
	v_mov_b32_e32 v13, v146
	v_pk_add_f32 v[64:65], v[74:75], v[64:65]
	v_pk_fma_f32 v[74:75], v[132:133], s[28:29], v[134:135] neg_lo:[0,0,1] neg_hi:[0,0,1]
	v_mov_b32_e32 v108, v6
	v_mov_b32_e32 v109, v1
	v_pk_fma_f32 v[10:11], v[142:143], s[12:13], v[4:5] op_sel:[0,0,1] op_sel_hi:[1,0,0]
	v_pk_fma_f32 v[4:5], v[142:143], s[12:13], v[4:5] op_sel:[0,0,1] op_sel_hi:[1,0,0] neg_lo:[0,0,1] neg_hi:[0,0,1]
	v_mov_b32_e32 v137, v139
	v_mov_b32_e32 v148, v147
	;; [unrolled: 1-line block ×3, first 2 shown]
	v_pk_mul_f32 v[150:151], v[12:13], s[14:15]
	s_mov_b32 s9, s26
	v_mov_b32_e32 v139, v75
	v_pk_mul_f32 v[80:81], v[66:67], s[28:29] op_sel_hi:[1,0]
	v_mov_b32_e32 v110, v10
	v_mov_b32_e32 v111, v5
	v_pk_fma_f32 v[152:153], v[148:149], s[18:19], v[150:151] neg_lo:[1,0,0] neg_hi:[1,0,0]
	v_pk_fma_f32 v[154:155], v[148:149], s[18:19], v[150:151]
	v_pk_add_f32 v[64:65], v[108:109], v[64:65]
	v_pk_add_f32 v[74:75], v[138:139], v[104:105]
	;; [unrolled: 1-line block ×3, first 2 shown]
	v_pk_fma_f32 v[78:79], v[148:149], s[18:19], v[150:151] neg_lo:[0,0,1] neg_hi:[0,0,1]
	v_pk_fma_f32 v[104:105], v[58:59], s[8:9], v[80:81] op_sel:[0,0,1] op_sel_hi:[1,0,0]
	v_pk_fma_f32 v[106:107], v[58:59], s[8:9], v[80:81] op_sel:[0,0,1] op_sel_hi:[1,0,0] neg_lo:[0,0,1] neg_hi:[0,0,1]
	v_pk_mul_f32 v[82:83], v[70:71], s[24:25] op_sel_hi:[1,0]
	v_mov_b32_e32 v153, v155
	s_mov_b32 s27, s8
	v_pk_add_f32 v[64:65], v[110:111], v[64:65]
	v_mov_b32_e32 v155, v79
	v_mov_b32_e32 v80, v104
	;; [unrolled: 1-line block ×3, first 2 shown]
	v_pk_fma_f32 v[108:109], v[62:63], s[16:17], v[82:83] op_sel:[0,0,1] op_sel_hi:[1,0,0]
	v_pk_fma_f32 v[110:111], v[62:63], s[16:17], v[82:83] op_sel:[0,0,1] op_sel_hi:[1,0,0] neg_lo:[0,0,1] neg_hi:[0,0,1]
	v_pk_mul_f32 v[12:13], v[20:21], s[26:27]
	s_mov_b32 s31, s0
	v_pk_add_f32 v[74:75], v[154:155], v[74:75]
	v_pk_add_f32 v[80:81], v[48:49], v[80:81]
	v_mov_b32_e32 v82, v108
	v_mov_b32_e32 v83, v111
	v_pk_fma_f32 v[14:15], v[2:3], s[8:9], v[12:13]
	v_pk_fma_f32 v[156:157], v[2:3], s[8:9], v[12:13] neg_lo:[1,0,0] neg_hi:[1,0,0]
	v_pk_mul_f32 v[16:17], v[56:57], s[30:31]
	s_mov_b32 s1, s30
	v_pk_add_f32 v[74:75], v[88:89], v[74:75]
	v_pk_add_f32 v[80:81], v[82:83], v[80:81]
	v_pk_mul_f32 v[82:83], v[144:145], s[40:41] op_sel_hi:[1,0]
	v_mov_b32_e32 v156, v14
	v_pk_fma_f32 v[18:19], v[8:9], s[0:1], v[16:17]
	v_pk_fma_f32 v[158:159], v[8:9], s[0:1], v[16:17] neg_lo:[1,0,0] neg_hi:[1,0,0]
	v_pk_add_f32 v[74:75], v[102:103], v[74:75]
	s_mov_b32 s23, s10
	v_pk_fma_f32 v[134:135], v[140:141], s[14:15], v[82:83] op_sel:[0,0,1] op_sel_hi:[1,0,0]
	v_pk_fma_f32 v[132:133], v[140:141], s[14:15], v[82:83] op_sel:[0,0,1] op_sel_hi:[1,0,0] neg_lo:[0,0,1] neg_hi:[0,0,1]
	v_pk_mul_f32 v[84:85], v[146:147], s[30:31] op_sel_hi:[1,0]
	v_pk_mul_f32 v[88:89], v[66:67], s[18:19] op_sel_hi:[1,0]
	v_mov_b32_e32 v158, v18
	v_pk_add_f32 v[76:77], v[152:153], v[76:77]
	v_pk_add_f32 v[64:65], v[156:157], v[64:65]
	s_waitcnt lgkmcnt(0)
	; wave barrier
	ds_write2_b64 v167, v[60:61], v[74:75] offset1:13
	v_pk_mul_f32 v[60:61], v[20:21], s[22:23]
	s_mov_b32 s11, s22
	v_mov_b32_e32 v82, v134
	v_mov_b32_e32 v83, v133
	v_pk_fma_f32 v[138:139], v[142:143], s[0:1], v[84:85] op_sel:[0,0,1] op_sel_hi:[1,0,0]
	v_pk_fma_f32 v[136:137], v[142:143], s[0:1], v[84:85] op_sel:[0,0,1] op_sel_hi:[1,0,0] neg_lo:[0,0,1] neg_hi:[0,0,1]
	v_pk_fma_f32 v[148:149], v[58:59], s[14:15], v[88:89] op_sel:[0,0,1] op_sel_hi:[1,0,0]
	v_pk_fma_f32 v[88:89], v[58:59], s[14:15], v[88:89] op_sel:[0,0,1] op_sel_hi:[1,0,0] neg_lo:[0,0,1] neg_hi:[0,0,1]
	v_pk_mul_f32 v[152:153], v[70:71], s[34:35] op_sel_hi:[1,0]
	v_pk_add_f32 v[40:41], v[40:41], v[76:77]
	v_pk_add_f32 v[76:77], v[158:159], v[64:65]
	v_pk_fma_f32 v[64:65], v[2:3], s[10:11], v[60:61]
	v_pk_fma_f32 v[74:75], v[2:3], s[10:11], v[60:61] neg_lo:[1,0,0] neg_hi:[1,0,0]
	v_pk_mul_f32 v[102:103], v[56:57], s[20:21]
	v_mov_b32_e32 v84, v138
	v_mov_b32_e32 v85, v137
	v_pk_add_f32 v[80:81], v[82:83], v[80:81]
	v_mov_b32_e32 v150, v148
	v_mov_b32_e32 v151, v89
	v_pk_fma_f32 v[154:155], v[62:63], s[12:13], v[152:153] op_sel:[0,0,1] op_sel_hi:[1,0,0]
	v_pk_fma_f32 v[152:153], v[62:63], s[12:13], v[152:153] op_sel:[0,0,1] op_sel_hi:[1,0,0] neg_lo:[0,0,1] neg_hi:[0,0,1]
	v_pk_add_f32 v[40:41], v[68:69], v[40:41]
	v_mov_b32_e32 v74, v64
	v_pk_fma_f32 v[68:69], v[8:9], s[12:13], v[102:103]
	v_pk_fma_f32 v[78:79], v[8:9], s[12:13], v[102:103] neg_lo:[1,0,0] neg_hi:[1,0,0]
	v_pk_add_f32 v[80:81], v[84:85], v[80:81]
	v_pk_add_f32 v[150:151], v[48:49], v[150:151]
	v_mov_b32_e32 v156, v154
	v_mov_b32_e32 v157, v153
	;; [unrolled: 1-line block ×3, first 2 shown]
	v_pk_add_f32 v[74:75], v[74:75], v[80:81]
	v_pk_add_f32 v[150:151], v[156:157], v[150:151]
	v_pk_mul_f32 v[156:157], v[144:145], s[30:31] op_sel_hi:[1,0]
	v_pk_add_f32 v[74:75], v[78:79], v[74:75]
	s_mov_b32 s39, s16
	v_pk_fma_f32 v[158:159], v[140:141], s[0:1], v[156:157] op_sel:[0,0,1] op_sel_hi:[1,0,0]
	v_pk_fma_f32 v[156:157], v[140:141], s[0:1], v[156:157] op_sel:[0,0,1] op_sel_hi:[1,0,0] neg_lo:[0,0,1] neg_hi:[0,0,1]
	v_pk_mul_f32 v[162:163], v[146:147], s[28:29] op_sel_hi:[1,0]
	ds_write2_b64 v167, v[76:77], v[74:75] offset0:26 offset1:39
	v_pk_mul_f32 v[74:75], v[20:21], s[38:39]
	s_mov_b32 s17, s38
	s_mov_b32 s37, s10
	v_mov_b32_e32 v160, v158
	v_mov_b32_e32 v161, v157
	v_pk_fma_f32 v[164:165], v[142:143], s[8:9], v[162:163] op_sel:[0,0,1] op_sel_hi:[1,0,0]
	v_pk_fma_f32 v[162:163], v[142:143], s[8:9], v[162:163] op_sel:[0,0,1] op_sel_hi:[1,0,0] neg_lo:[0,0,1] neg_hi:[0,0,1]
	v_pk_fma_f32 v[76:77], v[2:3], s[16:17], v[74:75]
	v_pk_fma_f32 v[78:79], v[2:3], s[16:17], v[74:75] neg_lo:[1,0,0] neg_hi:[1,0,0]
	v_pk_mul_f32 v[80:81], v[56:57], s[36:37]
	s_mov_b32 s40, s10
	s_mov_b32 s41, s36
	v_mov_b32_e32 v170, v164
	v_mov_b32_e32 v171, v163
	v_pk_add_f32 v[150:151], v[160:161], v[150:151]
	v_mov_b32_e32 v78, v76
	v_pk_fma_f32 v[82:83], v[8:9], s[40:41], v[80:81]
	v_pk_fma_f32 v[84:85], v[8:9], s[40:41], v[80:81] neg_lo:[1,0,0] neg_hi:[1,0,0]
	v_pk_add_f32 v[150:151], v[170:171], v[150:151]
	v_mov_b32_e32 v84, v82
	v_pk_add_f32 v[78:79], v[78:79], v[150:151]
	v_pk_mul_f32 v[170:171], v[70:71], s[26:27] op_sel_hi:[1,0]
	v_pk_add_f32 v[78:79], v[84:85], v[78:79]
	v_pk_mul_f32 v[84:85], v[66:67], s[20:21] op_sel_hi:[1,0]
	v_pk_fma_f32 v[172:173], v[62:63], s[8:9], v[170:171] op_sel:[0,0,1] op_sel_hi:[1,0,0]
	v_pk_fma_f32 v[150:151], v[58:59], s[12:13], v[84:85] op_sel:[0,0,1] op_sel_hi:[1,0,0]
	v_pk_fma_f32 v[84:85], v[58:59], s[12:13], v[84:85] op_sel:[0,0,1] op_sel_hi:[1,0,0] neg_lo:[0,0,1] neg_hi:[0,0,1]
	v_mov_b32_e32 v160, v150
	v_mov_b32_e32 v161, v85
	v_pk_fma_f32 v[170:171], v[62:63], s[8:9], v[170:171] op_sel:[0,0,1] op_sel_hi:[1,0,0] neg_lo:[0,0,1] neg_hi:[0,0,1]
	v_pk_add_f32 v[160:161], v[48:49], v[160:161]
	v_mov_b32_e32 v174, v172
	v_mov_b32_e32 v175, v171
	v_pk_add_f32 v[160:161], v[174:175], v[160:161]
	v_pk_mul_f32 v[174:175], v[144:145], s[22:23] op_sel_hi:[1,0]
	v_pk_mul_f32 v[66:67], v[66:67], s[24:25] op_sel_hi:[1,0]
	v_pk_fma_f32 v[176:177], v[140:141], s[10:11], v[174:175] op_sel:[0,0,1] op_sel_hi:[1,0,0]
	v_pk_fma_f32 v[174:175], v[140:141], s[10:11], v[174:175] op_sel:[0,0,1] op_sel_hi:[1,0,0] neg_lo:[0,0,1] neg_hi:[0,0,1]
	v_mov_b32_e32 v178, v176
	v_mov_b32_e32 v179, v175
	v_pk_add_f32 v[160:161], v[178:179], v[160:161]
	v_pk_mul_f32 v[178:179], v[146:147], s[38:39] op_sel_hi:[1,0]
	v_pk_mul_f32 v[144:145], v[144:145], s[20:21] op_sel_hi:[1,0]
	v_pk_fma_f32 v[180:181], v[142:143], s[16:17], v[178:179] op_sel:[0,0,1] op_sel_hi:[1,0,0]
	v_pk_fma_f32 v[178:179], v[142:143], s[16:17], v[178:179] op_sel:[0,0,1] op_sel_hi:[1,0,0] neg_lo:[0,0,1] neg_hi:[0,0,1]
	v_mov_b32_e32 v182, v180
	v_mov_b32_e32 v183, v179
	v_pk_add_f32 v[160:161], v[182:183], v[160:161]
	v_pk_mul_f32 v[182:183], v[20:21], s[30:31]
	v_pk_mul_f32 v[20:21], v[20:21], s[18:19]
	v_pk_fma_f32 v[184:185], v[2:3], s[0:1], v[182:183]
	v_pk_fma_f32 v[186:187], v[2:3], s[0:1], v[182:183] neg_lo:[1,0,0] neg_hi:[1,0,0]
	v_mov_b32_e32 v85, v151
	v_mov_b32_e32 v186, v184
	v_pk_add_f32 v[160:161], v[186:187], v[160:161]
	v_pk_mul_f32 v[186:187], v[56:57], s[18:19]
	v_pk_mul_f32 v[56:57], v[56:57], s[26:27]
	v_pk_fma_f32 v[188:189], v[8:9], s[14:15], v[186:187]
	v_pk_fma_f32 v[190:191], v[8:9], s[14:15], v[186:187] neg_lo:[1,0,0] neg_hi:[1,0,0]
	v_pk_fma_f32 v[192:193], v[8:9], s[8:9], v[56:57] neg_lo:[1,0,0] neg_hi:[1,0,0]
	v_mov_b32_e32 v190, v188
	v_pk_add_f32 v[160:161], v[190:191], v[160:161]
	ds_write2_b64 v167, v[78:79], v[160:161] offset0:52 offset1:65
	v_pk_fma_f32 v[78:79], v[58:59], s[16:17], v[66:67] op_sel:[0,0,1] op_sel_hi:[1,0,0]
	v_pk_fma_f32 v[58:59], v[58:59], s[16:17], v[66:67] op_sel:[0,0,1] op_sel_hi:[1,0,0] neg_lo:[0,0,1] neg_hi:[0,0,1]
	v_pk_mul_f32 v[66:67], v[70:71], s[30:31] op_sel_hi:[1,0]
	v_pk_fma_f32 v[190:191], v[2:3], s[14:15], v[20:21] neg_lo:[1,0,0] neg_hi:[1,0,0]
	v_pk_fma_f32 v[70:71], v[62:63], s[0:1], v[66:67] op_sel:[0,0,1] op_sel_hi:[1,0,0]
	v_pk_fma_f32 v[62:63], v[62:63], s[0:1], v[66:67] op_sel:[0,0,1] op_sel_hi:[1,0,0] neg_lo:[0,0,1] neg_hi:[0,0,1]
	v_mov_b32_e32 v66, v78
	v_mov_b32_e32 v67, v59
	v_pk_add_f32 v[66:67], v[48:49], v[66:67]
	v_mov_b32_e32 v160, v70
	v_mov_b32_e32 v161, v63
	v_pk_add_f32 v[66:67], v[160:161], v[66:67]
	v_pk_fma_f32 v[160:161], v[140:141], s[12:13], v[144:145] op_sel:[0,0,1] op_sel_hi:[1,0,0]
	v_pk_fma_f32 v[140:141], v[140:141], s[12:13], v[144:145] op_sel:[0,0,1] op_sel_hi:[1,0,0] neg_lo:[0,0,1] neg_hi:[0,0,1]
	v_pk_mul_f32 v[144:145], v[146:147], s[36:37] op_sel_hi:[1,0]
	v_mov_b32_e32 v59, v79
	v_pk_fma_f32 v[146:147], v[142:143], s[10:11], v[144:145] op_sel:[0,0,1] op_sel_hi:[1,0,0]
	v_pk_fma_f32 v[142:143], v[142:143], s[10:11], v[144:145] op_sel:[0,0,1] op_sel_hi:[1,0,0] neg_lo:[0,0,1] neg_hi:[0,0,1]
	v_mov_b32_e32 v144, v160
	v_mov_b32_e32 v145, v141
	v_pk_add_f32 v[66:67], v[144:145], v[66:67]
	v_mov_b32_e32 v144, v146
	v_mov_b32_e32 v145, v143
	v_pk_add_f32 v[66:67], v[144:145], v[66:67]
	v_pk_fma_f32 v[144:145], v[2:3], s[14:15], v[20:21]
	v_pk_fma_f32 v[20:21], v[2:3], s[14:15], v[20:21] neg_lo:[0,0,1] neg_hi:[0,0,1]
	v_mov_b32_e32 v190, v144
	v_pk_add_f32 v[66:67], v[190:191], v[66:67]
	v_pk_fma_f32 v[190:191], v[8:9], s[8:9], v[56:57]
	v_mov_b32_e32 v21, v145
	v_pk_fma_f32 v[144:145], v[8:9], s[8:9], v[56:57] neg_lo:[0,0,1] neg_hi:[0,0,1]
	v_mov_b32_e32 v63, v71
	v_pk_add_f32 v[56:57], v[48:49], v[58:59]
	v_mov_b32_e32 v141, v161
	v_pk_add_f32 v[56:57], v[62:63], v[56:57]
	;; [unrolled: 2-line block ×5, first 2 shown]
	v_pk_add_f32 v[66:67], v[192:193], v[66:67]
	v_pk_add_f32 v[20:21], v[144:145], v[20:21]
	ds_write2_b64 v167, v[66:67], v[20:21] offset0:78 offset1:91
	v_pk_add_f32 v[66:67], v[48:49], v[84:85]
	v_mov_b32_e32 v171, v173
	v_pk_add_f32 v[66:67], v[170:171], v[66:67]
	v_mov_b32_e32 v175, v177
	v_pk_fma_f32 v[20:21], v[2:3], s[0:1], v[182:183] neg_lo:[0,0,1] neg_hi:[0,0,1]
	v_mov_b32_e32 v179, v181
	v_pk_add_f32 v[66:67], v[174:175], v[66:67]
	v_mov_b32_e32 v89, v149
	v_mov_b32_e32 v21, v185
	v_pk_fma_f32 v[62:63], v[8:9], s[14:15], v[186:187] neg_lo:[0,0,1] neg_hi:[0,0,1]
	v_pk_add_f32 v[66:67], v[178:179], v[66:67]
	v_pk_add_f32 v[70:71], v[48:49], v[88:89]
	v_mov_b32_e32 v153, v155
	v_mov_b32_e32 v63, v189
	v_pk_add_f32 v[20:21], v[20:21], v[66:67]
	v_pk_add_f32 v[70:71], v[152:153], v[70:71]
	v_mov_b32_e32 v157, v159
	v_pk_add_f32 v[20:21], v[62:63], v[20:21]
	v_pk_fma_f32 v[62:63], v[2:3], s[16:17], v[74:75] neg_lo:[0,0,1] neg_hi:[0,0,1]
	v_mov_b32_e32 v163, v165
	v_pk_add_f32 v[70:71], v[156:157], v[70:71]
	v_mov_b32_e32 v63, v77
	v_pk_fma_f32 v[66:67], v[8:9], s[40:41], v[80:81] neg_lo:[0,0,1] neg_hi:[0,0,1]
	v_pk_add_f32 v[70:71], v[162:163], v[70:71]
	v_mov_b32_e32 v67, v83
	v_pk_add_f32 v[62:63], v[62:63], v[70:71]
	v_mov_b32_e32 v107, v105
	;; [unrolled: 2-line block ×3, first 2 shown]
	ds_write2_b64 v167, v[20:21], v[62:63] offset0:104 offset1:117
	v_pk_fma_f32 v[20:21], v[2:3], s[10:11], v[60:61] neg_lo:[0,0,1] neg_hi:[0,0,1]
	v_pk_fma_f32 v[60:61], v[8:9], s[12:13], v[102:103] neg_lo:[0,0,1] neg_hi:[0,0,1]
	v_pk_add_f32 v[62:63], v[48:49], v[106:107]
	v_mov_b32_e32 v111, v109
	v_mov_b32_e32 v1, v7
	v_pk_fma_f32 v[6:7], v[8:9], s[0:1], v[16:17] neg_lo:[0,0,1] neg_hi:[0,0,1]
	v_pk_add_f32 v[8:9], v[48:49], v[50:51]
	v_mov_b32_e32 v55, v53
	v_pk_add_f32 v[62:63], v[110:111], v[62:63]
	v_mov_b32_e32 v133, v135
	;; [unrolled: 2-line block ×4, first 2 shown]
	v_pk_fma_f32 v[2:3], v[2:3], s[8:9], v[12:13] neg_lo:[0,0,1] neg_hi:[0,0,1]
	v_pk_add_f32 v[0:1], v[0:1], v[8:9]
	v_mov_b32_e32 v21, v65
	v_pk_add_f32 v[62:63], v[136:137], v[62:63]
	v_mov_b32_e32 v3, v15
	;; [unrolled: 2-line block ×4, first 2 shown]
	v_pk_add_f32 v[0:1], v[2:3], v[0:1]
	v_pk_add_f32 v[20:21], v[60:61], v[20:21]
	;; [unrolled: 1-line block ×3, first 2 shown]
	ds_write2_b64 v167, v[20:21], v[0:1] offset0:130 offset1:143
	ds_write_b64 v167, v[40:41] offset:1248
	s_waitcnt lgkmcnt(0)
	; wave barrier
	s_waitcnt lgkmcnt(0)
	ds_read2_b64 v[16:19], v72 offset1:52
	ds_read2_b64 v[0:3], v72 offset0:104 offset1:169
	ds_read2_b64 v[20:23], v168 offset0:82 offset1:134
	;; [unrolled: 1-line block ×5, first 2 shown]
	v_mov_b32_e32 v37, v36
	v_mov_b32_e32 v39, v38
	;; [unrolled: 1-line block ×16, first 2 shown]
	s_and_saveexec_b64 s[0:1], vcc
	s_cbranch_execz .LBB0_7
; %bb.6:
	v_add_u32_e32 v44, 0xe00, v72
	ds_read2_b64 v[40:43], v73 offset0:28 offset1:197
	ds_read2_b64 v[44:47], v44 offset0:46 offset1:215
.LBB0_7:
	s_or_b64 exec, exec, s[0:1]
	s_waitcnt lgkmcnt(4)
	v_pk_mul_f32 v[50:51], v[130:131], v[2:3]
	s_waitcnt lgkmcnt(3)
	v_pk_mul_f32 v[52:53], v[124:125], v[20:21]
	v_pk_fma_f32 v[74:75], v[36:37], v[2:3], v[50:51] op_sel:[0,0,1] op_sel_hi:[1,1,0]
	v_pk_fma_f32 v[2:3], v[36:37], v[2:3], v[50:51] op_sel:[0,0,1] op_sel_hi:[1,1,0] neg_lo:[0,0,1] neg_hi:[0,0,1]
	s_waitcnt lgkmcnt(2)
	v_pk_mul_f32 v[54:55], v[114:115], v[10:11]
	v_mov_b32_e32 v75, v3
	v_pk_fma_f32 v[2:3], v[38:39], v[20:21], v[52:53] op_sel:[0,0,1] op_sel_hi:[1,1,0]
	v_pk_fma_f32 v[20:21], v[38:39], v[20:21], v[52:53] op_sel:[0,0,1] op_sel_hi:[1,1,0] neg_lo:[0,0,1] neg_hi:[0,0,1]
	s_waitcnt lgkmcnt(1)
	v_pk_mul_f32 v[60:61], v[128:129], v[12:13]
	v_mov_b32_e32 v3, v21
	v_pk_fma_f32 v[20:21], v[58:59], v[10:11], v[54:55] op_sel:[0,0,1] op_sel_hi:[1,1,0]
	v_pk_fma_f32 v[10:11], v[58:59], v[10:11], v[54:55] op_sel:[0,0,1] op_sel_hi:[1,1,0] neg_lo:[0,0,1] neg_hi:[0,0,1]
	v_pk_add_f32 v[2:3], v[16:17], v[2:3] neg_lo:[0,1] neg_hi:[0,1]
	v_mov_b32_e32 v21, v11
	v_pk_fma_f32 v[10:11], v[16:17], 2.0, v[2:3] op_sel_hi:[1,0,1] neg_lo:[0,0,1] neg_hi:[0,0,1]
	v_pk_add_f32 v[16:17], v[74:75], v[20:21] neg_lo:[0,1] neg_hi:[0,1]
	v_pk_mul_f32 v[62:63], v[122:123], v[22:23]
	v_pk_fma_f32 v[20:21], v[74:75], 2.0, v[16:17] op_sel_hi:[1,0,1] neg_lo:[0,0,1] neg_hi:[0,0,1]
	v_pk_add_f32 v[36:37], v[2:3], v[16:17] op_sel:[0,1] op_sel_hi:[1,0]
	v_pk_add_f32 v[16:17], v[2:3], v[16:17] op_sel:[0,1] op_sel_hi:[1,0] neg_lo:[0,1] neg_hi:[0,1]
	v_pk_add_f32 v[20:21], v[10:11], v[20:21] neg_lo:[0,1] neg_hi:[0,1]
	v_mov_b32_e32 v37, v17
	v_pk_fma_f32 v[2:3], v[2:3], 2.0, v[36:37] op_sel_hi:[1,0,1] neg_lo:[0,0,1] neg_hi:[0,0,1]
	ds_write_b64 v72, v[2:3] offset:1352
	ds_write_b64 v72, v[20:21] offset:2704
	;; [unrolled: 1-line block ×3, first 2 shown]
	v_pk_fma_f32 v[2:3], v[32:33], v[12:13], v[60:61] op_sel:[0,0,1] op_sel_hi:[1,1,0]
	v_pk_fma_f32 v[12:13], v[32:33], v[12:13], v[60:61] op_sel:[0,0,1] op_sel_hi:[1,1,0] neg_lo:[0,0,1] neg_hi:[0,0,1]
	s_waitcnt lgkmcnt(3)
	v_pk_mul_f32 v[64:65], v[118:119], v[4:5]
	v_mov_b32_e32 v3, v13
	v_pk_fma_f32 v[12:13], v[34:35], v[22:23], v[62:63] op_sel:[0,0,1] op_sel_hi:[1,1,0]
	v_pk_fma_f32 v[16:17], v[34:35], v[22:23], v[62:63] op_sel:[0,0,1] op_sel_hi:[1,1,0] neg_lo:[0,0,1] neg_hi:[0,0,1]
	v_pk_fma_f32 v[10:11], v[10:11], 2.0, v[20:21] op_sel_hi:[1,0,1] neg_lo:[0,0,1] neg_hi:[0,0,1]
	v_mov_b32_e32 v13, v17
	v_pk_fma_f32 v[16:17], v[56:57], v[4:5], v[64:65] op_sel:[0,0,1] op_sel_hi:[1,1,0]
	v_pk_fma_f32 v[4:5], v[56:57], v[4:5], v[64:65] op_sel:[0,0,1] op_sel_hi:[1,1,0] neg_lo:[0,0,1] neg_hi:[0,0,1]
	v_pk_mul_f32 v[66:67], v[126:127], v[14:15]
	v_mov_b32_e32 v17, v5
	v_pk_add_f32 v[4:5], v[18:19], v[12:13] neg_lo:[0,1] neg_hi:[0,1]
	v_pk_add_f32 v[16:17], v[2:3], v[16:17] neg_lo:[0,1] neg_hi:[0,1]
	v_pk_fma_f32 v[12:13], v[18:19], 2.0, v[4:5] op_sel_hi:[1,0,1] neg_lo:[0,0,1] neg_hi:[0,0,1]
	v_pk_fma_f32 v[2:3], v[2:3], 2.0, v[16:17] op_sel_hi:[1,0,1] neg_lo:[0,0,1] neg_hi:[0,0,1]
	v_pk_mul_f32 v[68:69], v[120:121], v[8:9]
	v_pk_add_f32 v[2:3], v[12:13], v[2:3] neg_lo:[0,1] neg_hi:[0,1]
	v_pk_mul_f32 v[70:71], v[116:117], v[6:7]
	v_pk_fma_f32 v[12:13], v[12:13], 2.0, v[2:3] op_sel_hi:[1,0,1] neg_lo:[0,0,1] neg_hi:[0,0,1]
	ds_write2_b64 v72, v[10:11], v[12:13] offset1:52
	v_pk_add_f32 v[10:11], v[4:5], v[16:17] op_sel:[0,1] op_sel_hi:[1,0]
	v_pk_add_f32 v[12:13], v[4:5], v[16:17] op_sel:[0,1] op_sel_hi:[1,0] neg_lo:[0,1] neg_hi:[0,1]
	s_nop 0
	v_mov_b32_e32 v11, v13
	v_pk_fma_f32 v[4:5], v[4:5], 2.0, v[10:11] op_sel_hi:[1,0,1] neg_lo:[0,0,1] neg_hi:[0,0,1]
	ds_write_b64 v72, v[2:3] offset:3120
	ds_write_b64 v72, v[10:11] offset:4472
	v_pk_fma_f32 v[2:3], v[28:29], v[14:15], v[66:67] op_sel:[0,0,1] op_sel_hi:[1,1,0]
	v_pk_fma_f32 v[10:11], v[28:29], v[14:15], v[66:67] op_sel:[0,0,1] op_sel_hi:[1,1,0] neg_lo:[0,0,1] neg_hi:[0,0,1]
	s_nop 0
	v_mov_b32_e32 v3, v11
	v_pk_fma_f32 v[10:11], v[30:31], v[8:9], v[68:69] op_sel:[0,0,1] op_sel_hi:[1,1,0]
	v_pk_fma_f32 v[8:9], v[30:31], v[8:9], v[68:69] op_sel:[0,0,1] op_sel_hi:[1,1,0] neg_lo:[0,0,1] neg_hi:[0,0,1]
	s_nop 0
	v_mov_b32_e32 v11, v9
	;; [unrolled: 4-line block ×3, first 2 shown]
	v_pk_add_f32 v[6:7], v[0:1], v[10:11] neg_lo:[0,1] neg_hi:[0,1]
	v_pk_add_f32 v[8:9], v[2:3], v[8:9] neg_lo:[0,1] neg_hi:[0,1]
	v_pk_fma_f32 v[0:1], v[0:1], 2.0, v[6:7] op_sel_hi:[1,0,1] neg_lo:[0,0,1] neg_hi:[0,0,1]
	v_pk_fma_f32 v[2:3], v[2:3], 2.0, v[8:9] op_sel_hi:[1,0,1] neg_lo:[0,0,1] neg_hi:[0,0,1]
	s_nop 0
	v_pk_add_f32 v[2:3], v[0:1], v[2:3] neg_lo:[0,1] neg_hi:[0,1]
	s_nop 0
	v_pk_fma_f32 v[0:1], v[0:1], 2.0, v[2:3] op_sel_hi:[1,0,1] neg_lo:[0,0,1] neg_hi:[0,0,1]
	ds_write_b64 v72, v[0:1] offset:832
	v_pk_add_f32 v[0:1], v[6:7], v[8:9] op_sel:[0,1] op_sel_hi:[1,0]
	v_pk_add_f32 v[8:9], v[6:7], v[8:9] op_sel:[0,1] op_sel_hi:[1,0] neg_lo:[0,1] neg_hi:[0,1]
	s_nop 0
	v_mov_b32_e32 v1, v9
	v_pk_fma_f32 v[6:7], v[6:7], 2.0, v[0:1] op_sel_hi:[1,0,1] neg_lo:[0,0,1] neg_hi:[0,0,1]
	ds_write2_b64 v73, v[4:5], v[6:7] offset0:93 offset1:145
	ds_write_b64 v72, v[2:3] offset:3536
	ds_write_b64 v72, v[0:1] offset:4888
	s_and_saveexec_b64 s[0:1], vcc
	s_cbranch_execz .LBB0_9
; %bb.8:
	v_pk_mul_f32 v[0:1], v[26:27], v[44:45] op_sel:[0,1]
	v_pk_mul_f32 v[2:3], v[24:25], v[42:43] op_sel:[0,1]
	v_pk_fma_f32 v[6:7], v[26:27], v[44:45], v[0:1] op_sel:[0,0,1] op_sel_hi:[1,1,0]
	v_pk_fma_f32 v[0:1], v[26:27], v[44:45], v[0:1] op_sel:[0,0,1] op_sel_hi:[1,0,0] neg_lo:[1,0,0] neg_hi:[1,0,0]
	v_mov_b32_e32 v4, v47
	v_mov_b32_e32 v7, v1
	v_pk_mul_f32 v[4:5], v[112:113], v[4:5] op_sel_hi:[1,0]
	v_pk_add_f32 v[0:1], v[40:41], v[6:7] neg_lo:[0,1] neg_hi:[0,1]
	v_pk_fma_f32 v[6:7], v[24:25], v[42:43], v[2:3] op_sel:[0,0,1] op_sel_hi:[1,1,0]
	v_pk_fma_f32 v[2:3], v[24:25], v[42:43], v[2:3] op_sel:[0,0,1] op_sel_hi:[1,0,0] neg_lo:[1,0,0] neg_hi:[1,0,0]
	s_nop 0
	v_mov_b32_e32 v7, v3
	v_pk_fma_f32 v[2:3], v[112:113], v[46:47], v[4:5] op_sel:[0,0,1] op_sel_hi:[1,1,0]
	v_pk_fma_f32 v[4:5], v[112:113], v[46:47], v[4:5] op_sel:[0,0,1] op_sel_hi:[1,0,0] neg_lo:[1,0,0] neg_hi:[1,0,0]
	s_nop 0
	v_mov_b32_e32 v3, v5
	v_pk_add_f32 v[2:3], v[6:7], v[2:3] neg_lo:[0,1] neg_hi:[0,1]
	v_pk_fma_f32 v[4:5], v[40:41], 2.0, v[0:1] op_sel_hi:[1,0,1] neg_lo:[0,0,1] neg_hi:[0,0,1]
	v_pk_fma_f32 v[6:7], v[6:7], 2.0, v[2:3] op_sel_hi:[1,0,1] neg_lo:[0,0,1] neg_hi:[0,0,1]
	v_pk_add_f32 v[8:9], v[0:1], v[2:3] op_sel:[0,1] op_sel_hi:[1,0]
	v_pk_add_f32 v[2:3], v[0:1], v[2:3] op_sel:[0,1] op_sel_hi:[1,0] neg_lo:[0,1] neg_hi:[0,1]
	v_pk_add_f32 v[6:7], v[4:5], v[6:7] neg_lo:[0,1] neg_hi:[0,1]
	v_mov_b32_e32 v9, v3
	v_pk_fma_f32 v[4:5], v[4:5], 2.0, v[6:7] op_sel_hi:[1,0,1] neg_lo:[0,0,1] neg_hi:[0,0,1]
	v_pk_fma_f32 v[0:1], v[0:1], 2.0, v[8:9] op_sel_hi:[1,0,1] neg_lo:[0,0,1] neg_hi:[0,0,1]
	v_add_u32_e32 v2, 0x400, v72
	ds_write2_b64 v2, v[4:5], v[0:1] offset0:28 offset1:197
	v_add_u32_e32 v0, 0xe00, v72
	ds_write2_b64 v0, v[6:7], v[8:9] offset0:46 offset1:215
.LBB0_9:
	s_or_b64 exec, exec, s[0:1]
	s_waitcnt lgkmcnt(0)
	; wave barrier
	s_waitcnt lgkmcnt(0)
	ds_read2_b64 v[0:3], v72 offset1:52
	v_mad_u64_u32 v[6:7], s[0:1], s6, v86, 0
	v_mov_b32_e32 v8, v7
	v_mad_u64_u32 v[8:9], s[0:1], s7, v86, v[8:9]
	v_mov_b32_e32 v7, v8
	s_waitcnt lgkmcnt(0)
	v_mul_f32_e32 v8, v101, v1
	v_fmac_f32_e32 v8, v100, v0
	v_mul_f32_e32 v0, v101, v0
	s_mov_b32 s0, 0x7ab2bedd
	v_fma_f32 v0, v100, v1, -v0
	v_cvt_f64_f32_e32 v[8:9], v8
	s_mov_b32 s1, 0x3f583c97
	v_cvt_f64_f32_e32 v[0:1], v0
	v_mul_f64 v[8:9], v[8:9], s[0:1]
	v_mul_f64 v[0:1], v[0:1], s[0:1]
	v_mov_b32_e32 v4, s2
	v_mov_b32_e32 v5, s3
	v_cvt_f32_f64_e32 v8, v[8:9]
	v_cvt_f32_f64_e32 v9, v[0:1]
	v_mad_u64_u32 v[0:1], s[2:3], s4, v166, 0
	v_mov_b32_e32 v10, v1
	v_mad_u64_u32 v[10:11], s[2:3], s5, v166, v[10:11]
	v_mov_b32_e32 v1, v10
	v_lshl_add_u64 v[4:5], v[6:7], 3, v[4:5]
	v_lshl_add_u64 v[4:5], v[0:1], 3, v[4:5]
	v_mul_f32_e32 v0, v99, v3
	v_fmac_f32_e32 v0, v98, v2
	v_cvt_f64_f32_e32 v[0:1], v0
	v_mul_f64 v[0:1], v[0:1], s[0:1]
	v_cvt_f32_f64_e32 v6, v[0:1]
	v_mul_f32_e32 v0, v99, v2
	v_fma_f32 v0, v98, v3, -v0
	v_cvt_f64_f32_e32 v[0:1], v0
	v_mul_f64 v[0:1], v[0:1], s[0:1]
	v_cvt_f32_f64_e32 v7, v[0:1]
	ds_read2_b64 v[0:3], v72 offset0:104 offset1:156
	global_store_dwordx2 v[4:5], v[8:9], off
	v_mov_b32_e32 v8, 0x1a0
	v_mad_u64_u32 v[4:5], s[2:3], s4, v8, v[4:5]
	s_mul_i32 s2, s5, 0x1a0
	s_nop 0
	v_add_u32_e32 v5, s2, v5
	global_store_dwordx2 v[4:5], v[6:7], off
	s_waitcnt lgkmcnt(0)
	v_mul_f32_e32 v6, v93, v1
	v_fmac_f32_e32 v6, v92, v0
	v_mul_f32_e32 v0, v93, v0
	v_fma_f32 v0, v92, v1, -v0
	v_cvt_f64_f32_e32 v[6:7], v6
	v_cvt_f64_f32_e32 v[0:1], v0
	v_mul_f64 v[6:7], v[6:7], s[0:1]
	v_mul_f64 v[0:1], v[0:1], s[0:1]
	v_cvt_f32_f64_e32 v6, v[6:7]
	v_cvt_f32_f64_e32 v7, v[0:1]
	v_mul_f32_e32 v0, v91, v3
	v_fmac_f32_e32 v0, v90, v2
	v_mad_u64_u32 v[4:5], s[6:7], s4, v8, v[4:5]
	v_cvt_f64_f32_e32 v[0:1], v0
	v_add_u32_e32 v5, s2, v5
	v_mul_f64 v[0:1], v[0:1], s[0:1]
	global_store_dwordx2 v[4:5], v[6:7], off
	v_cvt_f32_f64_e32 v6, v[0:1]
	v_mul_f32_e32 v0, v91, v2
	v_fma_f32 v0, v90, v3, -v0
	v_cvt_f64_f32_e32 v[0:1], v0
	v_mul_f64 v[0:1], v[0:1], s[0:1]
	v_cvt_f32_f64_e32 v7, v[0:1]
	v_add_u32_e32 v0, 0x400, v72
	ds_read2_b64 v[0:3], v0 offset0:80 offset1:132
	v_mad_u64_u32 v[4:5], s[6:7], s4, v8, v[4:5]
	v_add_u32_e32 v5, s2, v5
	global_store_dwordx2 v[4:5], v[6:7], off
	s_waitcnt lgkmcnt(0)
	v_mul_f32_e32 v6, v97, v1
	v_fmac_f32_e32 v6, v96, v0
	v_mul_f32_e32 v0, v97, v0
	v_fma_f32 v0, v96, v1, -v0
	v_cvt_f64_f32_e32 v[6:7], v6
	v_cvt_f64_f32_e32 v[0:1], v0
	v_mul_f64 v[6:7], v[6:7], s[0:1]
	v_mul_f64 v[0:1], v[0:1], s[0:1]
	v_cvt_f32_f64_e32 v6, v[6:7]
	v_cvt_f32_f64_e32 v7, v[0:1]
	v_mul_f32_e32 v0, v95, v3
	v_fmac_f32_e32 v0, v94, v2
	v_mad_u64_u32 v[4:5], s[6:7], s4, v8, v[4:5]
	v_cvt_f64_f32_e32 v[0:1], v0
	v_add_u32_e32 v5, s2, v5
	v_mul_f64 v[0:1], v[0:1], s[0:1]
	global_store_dwordx2 v[4:5], v[6:7], off
	v_cvt_f32_f64_e32 v6, v[0:1]
	v_mul_f32_e32 v0, v95, v2
	v_fma_f32 v0, v94, v3, -v0
	v_cvt_f64_f32_e32 v[0:1], v0
	v_mul_f64 v[0:1], v[0:1], s[0:1]
	v_add_u32_e32 v9, 0x800, v72
	v_cvt_f32_f64_e32 v7, v[0:1]
	ds_read2_b64 v[0:3], v9 offset0:56 offset1:108
	v_mad_u64_u32 v[4:5], s[6:7], s4, v8, v[4:5]
	v_accvgpr_read_b32 v10, a12
	v_add_u32_e32 v5, s2, v5
	v_accvgpr_read_b32 v11, a13
	global_store_dwordx2 v[4:5], v[6:7], off
	s_waitcnt lgkmcnt(0)
	v_mul_f32_e32 v6, v11, v1
	v_fmac_f32_e32 v6, v10, v0
	v_mul_f32_e32 v0, v11, v0
	v_fma_f32 v0, v10, v1, -v0
	v_cvt_f64_f32_e32 v[6:7], v6
	v_cvt_f64_f32_e32 v[0:1], v0
	v_mul_f64 v[6:7], v[6:7], s[0:1]
	v_mul_f64 v[0:1], v[0:1], s[0:1]
	v_accvgpr_read_b32 v11, a9
	v_cvt_f32_f64_e32 v6, v[6:7]
	v_cvt_f32_f64_e32 v7, v[0:1]
	v_accvgpr_read_b32 v10, a8
	v_mul_f32_e32 v0, v11, v3
	v_fmac_f32_e32 v0, v10, v2
	v_mad_u64_u32 v[4:5], s[6:7], s4, v8, v[4:5]
	v_cvt_f64_f32_e32 v[0:1], v0
	v_add_u32_e32 v5, s2, v5
	v_mul_f64 v[0:1], v[0:1], s[0:1]
	global_store_dwordx2 v[4:5], v[6:7], off
	v_cvt_f32_f64_e32 v6, v[0:1]
	v_mul_f32_e32 v0, v11, v2
	v_fma_f32 v0, v10, v3, -v0
	v_cvt_f64_f32_e32 v[0:1], v0
	v_mul_f64 v[0:1], v[0:1], s[0:1]
	v_cvt_f32_f64_e32 v7, v[0:1]
	ds_read2_b64 v[0:3], v9 offset0:160 offset1:212
	v_mad_u64_u32 v[4:5], s[6:7], s4, v8, v[4:5]
	v_accvgpr_read_b32 v10, a10
	v_add_u32_e32 v5, s2, v5
	v_accvgpr_read_b32 v11, a11
	global_store_dwordx2 v[4:5], v[6:7], off
	s_waitcnt lgkmcnt(0)
	v_mul_f32_e32 v6, v11, v1
	v_fmac_f32_e32 v6, v10, v0
	v_mul_f32_e32 v0, v11, v0
	v_fma_f32 v0, v10, v1, -v0
	v_cvt_f64_f32_e32 v[6:7], v6
	v_cvt_f64_f32_e32 v[0:1], v0
	v_mul_f64 v[6:7], v[6:7], s[0:1]
	v_mul_f64 v[0:1], v[0:1], s[0:1]
	v_accvgpr_read_b32 v11, a7
	v_cvt_f32_f64_e32 v6, v[6:7]
	v_cvt_f32_f64_e32 v7, v[0:1]
	v_accvgpr_read_b32 v10, a6
	v_mul_f32_e32 v0, v11, v3
	v_fmac_f32_e32 v0, v10, v2
	v_mad_u64_u32 v[4:5], s[6:7], s4, v8, v[4:5]
	v_cvt_f64_f32_e32 v[0:1], v0
	v_add_u32_e32 v5, s2, v5
	v_mul_f64 v[0:1], v[0:1], s[0:1]
	global_store_dwordx2 v[4:5], v[6:7], off
	v_cvt_f32_f64_e32 v6, v[0:1]
	v_mul_f32_e32 v0, v11, v2
	v_fma_f32 v0, v10, v3, -v0
	v_cvt_f64_f32_e32 v[0:1], v0
	v_mul_f64 v[0:1], v[0:1], s[0:1]
	v_cvt_f32_f64_e32 v7, v[0:1]
	v_add_u32_e32 v0, 0x1000, v72
	ds_read2_b64 v[0:3], v0 offset0:8 offset1:60
	v_mad_u64_u32 v[4:5], s[6:7], s4, v8, v[4:5]
	v_add_u32_e32 v5, s2, v5
	v_accvgpr_read_b32 v11, a5
	global_store_dwordx2 v[4:5], v[6:7], off
	v_accvgpr_read_b32 v10, a4
	s_waitcnt lgkmcnt(0)
	v_mul_f32_e32 v6, v11, v1
	v_fmac_f32_e32 v6, v10, v0
	v_mul_f32_e32 v0, v11, v0
	v_fma_f32 v0, v10, v1, -v0
	v_cvt_f64_f32_e32 v[6:7], v6
	v_cvt_f64_f32_e32 v[0:1], v0
	v_mul_f64 v[6:7], v[6:7], s[0:1]
	v_mul_f64 v[0:1], v[0:1], s[0:1]
	v_cvt_f32_f64_e32 v6, v[6:7]
	v_cvt_f32_f64_e32 v7, v[0:1]
	v_mad_u64_u32 v[0:1], s[6:7], s4, v8, v[4:5]
	v_add_u32_e32 v1, s2, v1
	global_store_dwordx2 v[0:1], v[6:7], off
	v_accvgpr_read_b32 v7, a3
	v_accvgpr_read_b32 v6, a2
	v_mul_f32_e32 v4, v7, v3
	v_fmac_f32_e32 v4, v6, v2
	v_mul_f32_e32 v2, v7, v2
	v_fma_f32 v2, v6, v3, -v2
	v_cvt_f64_f32_e32 v[4:5], v4
	v_cvt_f64_f32_e32 v[2:3], v2
	v_mul_f64 v[4:5], v[4:5], s[0:1]
	v_mul_f64 v[2:3], v[2:3], s[0:1]
	v_cvt_f32_f64_e32 v4, v[4:5]
	v_cvt_f32_f64_e32 v5, v[2:3]
	ds_read_b64 v[2:3], v72 offset:4992
	v_mad_u64_u32 v[0:1], s[6:7], s4, v8, v[0:1]
	v_add_u32_e32 v1, s2, v1
	v_accvgpr_read_b32 v7, a1
	global_store_dwordx2 v[0:1], v[4:5], off
	v_accvgpr_read_b32 v6, a0
	s_waitcnt lgkmcnt(0)
	v_mul_f32_e32 v4, v7, v3
	v_fmac_f32_e32 v4, v6, v2
	v_mul_f32_e32 v2, v7, v2
	v_fma_f32 v2, v6, v3, -v2
	v_cvt_f64_f32_e32 v[4:5], v4
	v_cvt_f64_f32_e32 v[2:3], v2
	v_mul_f64 v[4:5], v[4:5], s[0:1]
	v_mul_f64 v[2:3], v[2:3], s[0:1]
	v_mad_u64_u32 v[0:1], s[0:1], s4, v8, v[0:1]
	v_cvt_f32_f64_e32 v4, v[4:5]
	v_cvt_f32_f64_e32 v5, v[2:3]
	v_add_u32_e32 v1, s2, v1
	global_store_dwordx2 v[0:1], v[4:5], off
.LBB0_10:
	s_endpgm
	.section	.rodata,"a",@progbits
	.p2align	6, 0x0
	.amdhsa_kernel bluestein_single_fwd_len676_dim1_sp_op_CI_CI
		.amdhsa_group_segment_fixed_size 5408
		.amdhsa_private_segment_fixed_size 0
		.amdhsa_kernarg_size 104
		.amdhsa_user_sgpr_count 2
		.amdhsa_user_sgpr_dispatch_ptr 0
		.amdhsa_user_sgpr_queue_ptr 0
		.amdhsa_user_sgpr_kernarg_segment_ptr 1
		.amdhsa_user_sgpr_dispatch_id 0
		.amdhsa_user_sgpr_kernarg_preload_length 0
		.amdhsa_user_sgpr_kernarg_preload_offset 0
		.amdhsa_user_sgpr_private_segment_size 0
		.amdhsa_uses_dynamic_stack 0
		.amdhsa_enable_private_segment 0
		.amdhsa_system_sgpr_workgroup_id_x 1
		.amdhsa_system_sgpr_workgroup_id_y 0
		.amdhsa_system_sgpr_workgroup_id_z 0
		.amdhsa_system_sgpr_workgroup_info 0
		.amdhsa_system_vgpr_workitem_id 0
		.amdhsa_next_free_vgpr 270
		.amdhsa_next_free_sgpr 56
		.amdhsa_accum_offset 256
		.amdhsa_reserve_vcc 1
		.amdhsa_float_round_mode_32 0
		.amdhsa_float_round_mode_16_64 0
		.amdhsa_float_denorm_mode_32 3
		.amdhsa_float_denorm_mode_16_64 3
		.amdhsa_dx10_clamp 1
		.amdhsa_ieee_mode 1
		.amdhsa_fp16_overflow 0
		.amdhsa_tg_split 0
		.amdhsa_exception_fp_ieee_invalid_op 0
		.amdhsa_exception_fp_denorm_src 0
		.amdhsa_exception_fp_ieee_div_zero 0
		.amdhsa_exception_fp_ieee_overflow 0
		.amdhsa_exception_fp_ieee_underflow 0
		.amdhsa_exception_fp_ieee_inexact 0
		.amdhsa_exception_int_div_zero 0
	.end_amdhsa_kernel
	.text
.Lfunc_end0:
	.size	bluestein_single_fwd_len676_dim1_sp_op_CI_CI, .Lfunc_end0-bluestein_single_fwd_len676_dim1_sp_op_CI_CI
                                        ; -- End function
	.section	.AMDGPU.csdata,"",@progbits
; Kernel info:
; codeLenInByte = 15796
; NumSgprs: 62
; NumVgprs: 256
; NumAgprs: 14
; TotalNumVgprs: 270
; ScratchSize: 0
; MemoryBound: 0
; FloatMode: 240
; IeeeMode: 1
; LDSByteSize: 5408 bytes/workgroup (compile time only)
; SGPRBlocks: 7
; VGPRBlocks: 33
; NumSGPRsForWavesPerEU: 62
; NumVGPRsForWavesPerEU: 270
; AccumOffset: 256
; Occupancy: 1
; WaveLimiterHint : 1
; COMPUTE_PGM_RSRC2:SCRATCH_EN: 0
; COMPUTE_PGM_RSRC2:USER_SGPR: 2
; COMPUTE_PGM_RSRC2:TRAP_HANDLER: 0
; COMPUTE_PGM_RSRC2:TGID_X_EN: 1
; COMPUTE_PGM_RSRC2:TGID_Y_EN: 0
; COMPUTE_PGM_RSRC2:TGID_Z_EN: 0
; COMPUTE_PGM_RSRC2:TIDIG_COMP_CNT: 0
; COMPUTE_PGM_RSRC3_GFX90A:ACCUM_OFFSET: 63
; COMPUTE_PGM_RSRC3_GFX90A:TG_SPLIT: 0
	.text
	.p2alignl 6, 3212836864
	.fill 256, 4, 3212836864
	.type	__hip_cuid_82d4709a71af1033,@object ; @__hip_cuid_82d4709a71af1033
	.section	.bss,"aw",@nobits
	.globl	__hip_cuid_82d4709a71af1033
__hip_cuid_82d4709a71af1033:
	.byte	0                               ; 0x0
	.size	__hip_cuid_82d4709a71af1033, 1

	.ident	"AMD clang version 19.0.0git (https://github.com/RadeonOpenCompute/llvm-project roc-6.4.0 25133 c7fe45cf4b819c5991fe208aaa96edf142730f1d)"
	.section	".note.GNU-stack","",@progbits
	.addrsig
	.addrsig_sym __hip_cuid_82d4709a71af1033
	.amdgpu_metadata
---
amdhsa.kernels:
  - .agpr_count:     14
    .args:
      - .actual_access:  read_only
        .address_space:  global
        .offset:         0
        .size:           8
        .value_kind:     global_buffer
      - .actual_access:  read_only
        .address_space:  global
        .offset:         8
        .size:           8
        .value_kind:     global_buffer
      - .actual_access:  read_only
        .address_space:  global
        .offset:         16
        .size:           8
        .value_kind:     global_buffer
      - .actual_access:  read_only
        .address_space:  global
        .offset:         24
        .size:           8
        .value_kind:     global_buffer
      - .actual_access:  read_only
        .address_space:  global
        .offset:         32
        .size:           8
        .value_kind:     global_buffer
      - .offset:         40
        .size:           8
        .value_kind:     by_value
      - .address_space:  global
        .offset:         48
        .size:           8
        .value_kind:     global_buffer
      - .address_space:  global
        .offset:         56
        .size:           8
        .value_kind:     global_buffer
      - .address_space:  global
        .offset:         64
        .size:           8
        .value_kind:     global_buffer
      - .address_space:  global
        .offset:         72
        .size:           8
        .value_kind:     global_buffer
      - .offset:         80
        .size:           4
        .value_kind:     by_value
      - .address_space:  global
        .offset:         88
        .size:           8
        .value_kind:     global_buffer
      - .address_space:  global
        .offset:         96
        .size:           8
        .value_kind:     global_buffer
    .group_segment_fixed_size: 5408
    .kernarg_segment_align: 8
    .kernarg_segment_size: 104
    .language:       OpenCL C
    .language_version:
      - 2
      - 0
    .max_flat_workgroup_size: 52
    .name:           bluestein_single_fwd_len676_dim1_sp_op_CI_CI
    .private_segment_fixed_size: 0
    .sgpr_count:     62
    .sgpr_spill_count: 0
    .symbol:         bluestein_single_fwd_len676_dim1_sp_op_CI_CI.kd
    .uniform_work_group_size: 1
    .uses_dynamic_stack: false
    .vgpr_count:     270
    .vgpr_spill_count: 0
    .wavefront_size: 64
amdhsa.target:   amdgcn-amd-amdhsa--gfx950
amdhsa.version:
  - 1
  - 2
...

	.end_amdgpu_metadata
